;; amdgpu-corpus repo=ROCm/rocFFT kind=compiled arch=gfx950 opt=O3
	.text
	.amdgcn_target "amdgcn-amd-amdhsa--gfx950"
	.amdhsa_code_object_version 6
	.protected	fft_rtc_fwd_len1260_factors_2_2_3_3_5_7_wgs_63_tpt_63_halfLds_sp_ip_CI_sbrr_dirReg ; -- Begin function fft_rtc_fwd_len1260_factors_2_2_3_3_5_7_wgs_63_tpt_63_halfLds_sp_ip_CI_sbrr_dirReg
	.globl	fft_rtc_fwd_len1260_factors_2_2_3_3_5_7_wgs_63_tpt_63_halfLds_sp_ip_CI_sbrr_dirReg
	.p2align	8
	.type	fft_rtc_fwd_len1260_factors_2_2_3_3_5_7_wgs_63_tpt_63_halfLds_sp_ip_CI_sbrr_dirReg,@function
fft_rtc_fwd_len1260_factors_2_2_3_3_5_7_wgs_63_tpt_63_halfLds_sp_ip_CI_sbrr_dirReg: ; @fft_rtc_fwd_len1260_factors_2_2_3_3_5_7_wgs_63_tpt_63_halfLds_sp_ip_CI_sbrr_dirReg
; %bb.0:
	s_load_dwordx2 s[12:13], s[0:1], 0x18
	s_load_dwordx4 s[4:7], s[0:1], 0x0
	s_load_dwordx2 s[10:11], s[0:1], 0x50
	v_mul_u32_u24_e32 v1, 0x411, v0
	v_add_u32_sdwa v6, s2, v1 dst_sel:DWORD dst_unused:UNUSED_PAD src0_sel:DWORD src1_sel:WORD_1
	s_waitcnt lgkmcnt(0)
	s_load_dwordx2 s[8:9], s[12:13], 0x0
	v_mov_b32_e32 v4, 0
	v_cmp_lt_u64_e64 s[2:3], s[6:7], 2
	v_mov_b32_e32 v7, v4
	s_and_b64 vcc, exec, s[2:3]
	v_mov_b64_e32 v[2:3], 0
	s_cbranch_vccnz .LBB0_8
; %bb.1:
	s_load_dwordx2 s[2:3], s[0:1], 0x10
	s_add_u32 s14, s12, 8
	s_addc_u32 s15, s13, 0
	s_mov_b64 s[16:17], 1
	v_mov_b64_e32 v[2:3], 0
	s_waitcnt lgkmcnt(0)
	s_add_u32 s18, s2, 8
	s_addc_u32 s19, s3, 0
.LBB0_2:                                ; =>This Inner Loop Header: Depth=1
	s_load_dwordx2 s[20:21], s[18:19], 0x0
                                        ; implicit-def: $vgpr8_vgpr9
	s_waitcnt lgkmcnt(0)
	v_or_b32_e32 v5, s21, v7
	v_cmp_ne_u64_e32 vcc, 0, v[4:5]
	s_and_saveexec_b64 s[2:3], vcc
	s_xor_b64 s[22:23], exec, s[2:3]
	s_cbranch_execz .LBB0_4
; %bb.3:                                ;   in Loop: Header=BB0_2 Depth=1
	v_cvt_f32_u32_e32 v1, s20
	v_cvt_f32_u32_e32 v5, s21
	s_sub_u32 s2, 0, s20
	s_subb_u32 s3, 0, s21
	v_fmac_f32_e32 v1, 0x4f800000, v5
	v_rcp_f32_e32 v1, v1
	s_nop 0
	v_mul_f32_e32 v1, 0x5f7ffffc, v1
	v_mul_f32_e32 v5, 0x2f800000, v1
	v_trunc_f32_e32 v5, v5
	v_fmac_f32_e32 v1, 0xcf800000, v5
	v_cvt_u32_f32_e32 v5, v5
	v_cvt_u32_f32_e32 v1, v1
	v_mul_lo_u32 v8, s2, v5
	v_mul_hi_u32 v10, s2, v1
	v_mul_lo_u32 v9, s3, v1
	v_add_u32_e32 v10, v10, v8
	v_mul_lo_u32 v12, s2, v1
	v_add_u32_e32 v13, v10, v9
	v_mul_hi_u32 v8, v1, v12
	v_mul_hi_u32 v11, v1, v13
	v_mul_lo_u32 v10, v1, v13
	v_mov_b32_e32 v9, v4
	v_lshl_add_u64 v[8:9], v[8:9], 0, v[10:11]
	v_mul_hi_u32 v11, v5, v12
	v_mul_lo_u32 v12, v5, v12
	v_add_co_u32_e32 v8, vcc, v8, v12
	v_mul_hi_u32 v10, v5, v13
	s_nop 0
	v_addc_co_u32_e32 v8, vcc, v9, v11, vcc
	v_mov_b32_e32 v9, v4
	s_nop 0
	v_addc_co_u32_e32 v11, vcc, 0, v10, vcc
	v_mul_lo_u32 v10, v5, v13
	v_lshl_add_u64 v[8:9], v[8:9], 0, v[10:11]
	v_add_co_u32_e32 v1, vcc, v1, v8
	v_mul_lo_u32 v10, s2, v1
	s_nop 0
	v_addc_co_u32_e32 v5, vcc, v5, v9, vcc
	v_mul_lo_u32 v8, s2, v5
	v_mul_hi_u32 v9, s2, v1
	v_add_u32_e32 v8, v9, v8
	v_mul_lo_u32 v9, s3, v1
	v_add_u32_e32 v12, v8, v9
	v_mul_hi_u32 v14, v5, v10
	v_mul_lo_u32 v15, v5, v10
	v_mul_hi_u32 v9, v1, v12
	v_mul_lo_u32 v8, v1, v12
	v_mul_hi_u32 v10, v1, v10
	v_mov_b32_e32 v11, v4
	v_lshl_add_u64 v[8:9], v[10:11], 0, v[8:9]
	v_add_co_u32_e32 v8, vcc, v8, v15
	v_mul_hi_u32 v13, v5, v12
	s_nop 0
	v_addc_co_u32_e32 v8, vcc, v9, v14, vcc
	v_mul_lo_u32 v10, v5, v12
	s_nop 0
	v_addc_co_u32_e32 v11, vcc, 0, v13, vcc
	v_mov_b32_e32 v9, v4
	v_lshl_add_u64 v[8:9], v[8:9], 0, v[10:11]
	v_add_co_u32_e32 v1, vcc, v1, v8
	v_mul_hi_u32 v10, v6, v1
	s_nop 0
	v_addc_co_u32_e32 v5, vcc, v5, v9, vcc
	v_mad_u64_u32 v[8:9], s[2:3], v6, v5, 0
	v_mov_b32_e32 v11, v4
	v_lshl_add_u64 v[8:9], v[10:11], 0, v[8:9]
	v_mad_u64_u32 v[12:13], s[2:3], v7, v1, 0
	v_add_co_u32_e32 v1, vcc, v8, v12
	v_mad_u64_u32 v[10:11], s[2:3], v7, v5, 0
	s_nop 0
	v_addc_co_u32_e32 v8, vcc, v9, v13, vcc
	v_mov_b32_e32 v9, v4
	s_nop 0
	v_addc_co_u32_e32 v11, vcc, 0, v11, vcc
	v_lshl_add_u64 v[8:9], v[8:9], 0, v[10:11]
	v_mul_lo_u32 v1, s21, v8
	v_mul_lo_u32 v5, s20, v9
	v_mad_u64_u32 v[10:11], s[2:3], s20, v8, 0
	v_add3_u32 v1, v11, v5, v1
	v_sub_u32_e32 v5, v7, v1
	v_mov_b32_e32 v11, s21
	v_sub_co_u32_e32 v14, vcc, v6, v10
	v_lshl_add_u64 v[12:13], v[8:9], 0, 1
	s_nop 0
	v_subb_co_u32_e64 v5, s[2:3], v5, v11, vcc
	v_subrev_co_u32_e64 v10, s[2:3], s20, v14
	v_subb_co_u32_e32 v1, vcc, v7, v1, vcc
	s_nop 0
	v_subbrev_co_u32_e64 v5, s[2:3], 0, v5, s[2:3]
	v_cmp_le_u32_e64 s[2:3], s21, v5
	v_cmp_le_u32_e32 vcc, s21, v1
	s_nop 0
	v_cndmask_b32_e64 v11, 0, -1, s[2:3]
	v_cmp_le_u32_e64 s[2:3], s20, v10
	s_nop 1
	v_cndmask_b32_e64 v10, 0, -1, s[2:3]
	v_cmp_eq_u32_e64 s[2:3], s21, v5
	s_nop 1
	v_cndmask_b32_e64 v5, v11, v10, s[2:3]
	v_lshl_add_u64 v[10:11], v[8:9], 0, 2
	v_cmp_ne_u32_e64 s[2:3], 0, v5
	s_nop 1
	v_cndmask_b32_e64 v5, v13, v11, s[2:3]
	v_cndmask_b32_e64 v11, 0, -1, vcc
	v_cmp_le_u32_e32 vcc, s20, v14
	s_nop 1
	v_cndmask_b32_e64 v13, 0, -1, vcc
	v_cmp_eq_u32_e32 vcc, s21, v1
	s_nop 1
	v_cndmask_b32_e32 v1, v11, v13, vcc
	v_cmp_ne_u32_e32 vcc, 0, v1
	v_cndmask_b32_e64 v1, v12, v10, s[2:3]
	s_nop 0
	v_cndmask_b32_e32 v9, v9, v5, vcc
	v_cndmask_b32_e32 v8, v8, v1, vcc
.LBB0_4:                                ;   in Loop: Header=BB0_2 Depth=1
	s_andn2_saveexec_b64 s[2:3], s[22:23]
	s_cbranch_execz .LBB0_6
; %bb.5:                                ;   in Loop: Header=BB0_2 Depth=1
	v_cvt_f32_u32_e32 v1, s20
	s_sub_i32 s22, 0, s20
	v_rcp_iflag_f32_e32 v1, v1
	s_nop 0
	v_mul_f32_e32 v1, 0x4f7ffffe, v1
	v_cvt_u32_f32_e32 v1, v1
	v_mul_lo_u32 v5, s22, v1
	v_mul_hi_u32 v5, v1, v5
	v_add_u32_e32 v1, v1, v5
	v_mul_hi_u32 v1, v6, v1
	v_mul_lo_u32 v5, v1, s20
	v_sub_u32_e32 v5, v6, v5
	v_add_u32_e32 v8, 1, v1
	v_subrev_u32_e32 v9, s20, v5
	v_cmp_le_u32_e32 vcc, s20, v5
	s_nop 1
	v_cndmask_b32_e32 v5, v5, v9, vcc
	v_cndmask_b32_e32 v1, v1, v8, vcc
	v_add_u32_e32 v8, 1, v1
	v_cmp_le_u32_e32 vcc, s20, v5
	v_mov_b32_e32 v9, v4
	s_nop 0
	v_cndmask_b32_e32 v8, v1, v8, vcc
.LBB0_6:                                ;   in Loop: Header=BB0_2 Depth=1
	s_or_b64 exec, exec, s[2:3]
	v_mad_u64_u32 v[10:11], s[2:3], v8, s20, 0
	s_load_dwordx2 s[2:3], s[14:15], 0x0
	v_mul_lo_u32 v1, v9, s20
	v_mul_lo_u32 v5, v8, s21
	v_add3_u32 v1, v11, v5, v1
	v_sub_co_u32_e32 v5, vcc, v6, v10
	s_add_u32 s16, s16, 1
	s_nop 0
	v_subb_co_u32_e32 v1, vcc, v7, v1, vcc
	s_addc_u32 s17, s17, 0
	s_waitcnt lgkmcnt(0)
	v_mul_lo_u32 v1, s2, v1
	v_mul_lo_u32 v6, s3, v5
	v_mad_u64_u32 v[2:3], s[2:3], s2, v5, v[2:3]
	s_add_u32 s14, s14, 8
	v_add3_u32 v3, v6, v3, v1
	s_addc_u32 s15, s15, 0
	v_mov_b64_e32 v[6:7], s[6:7]
	s_add_u32 s18, s18, 8
	v_cmp_ge_u64_e32 vcc, s[16:17], v[6:7]
	s_addc_u32 s19, s19, 0
	s_cbranch_vccnz .LBB0_9
; %bb.7:                                ;   in Loop: Header=BB0_2 Depth=1
	v_mov_b64_e32 v[6:7], v[8:9]
	s_branch .LBB0_2
.LBB0_8:
	v_mov_b64_e32 v[8:9], v[6:7]
.LBB0_9:
	s_lshl_b64 s[2:3], s[6:7], 3
	s_add_u32 s2, s12, s2
	s_addc_u32 s3, s13, s3
	s_load_dwordx2 s[6:7], s[2:3], 0x0
	s_load_dwordx2 s[12:13], s[0:1], 0x20
	s_mov_b32 s2, 0x4104105
                                        ; implicit-def: $vgpr64
                                        ; implicit-def: $vgpr79
                                        ; implicit-def: $vgpr50
                                        ; implicit-def: $vgpr51
                                        ; implicit-def: $vgpr54
                                        ; implicit-def: $vgpr55
                                        ; implicit-def: $vgpr56
	s_waitcnt lgkmcnt(0)
	v_mul_lo_u32 v1, s6, v9
	v_mul_lo_u32 v4, s7, v8
	v_mad_u64_u32 v[2:3], s[0:1], s6, v8, v[2:3]
	v_add3_u32 v3, v4, v3, v1
	v_mul_hi_u32 v1, v0, s2
	v_mul_u32_u24_e32 v1, 63, v1
	v_sub_u32_e32 v78, v0, v1
	v_cmp_gt_u64_e32 vcc, s[12:13], v[8:9]
	v_cmp_le_u64_e64 s[0:1], s[12:13], v[8:9]
	v_add_u32_e32 v65, 63, v78
                                        ; implicit-def: $vgpr0_vgpr1
                                        ; implicit-def: $sgpr2_sgpr3
	s_and_saveexec_b64 s[6:7], s[0:1]
	s_xor_b64 s[0:1], exec, s[6:7]
; %bb.10:
	v_add_u32_e32 v64, 63, v78
	v_add_u32_e32 v79, 0x7e, v78
	;; [unrolled: 1-line block ×9, first 2 shown]
	s_mov_b64 s[2:3], 0
; %bb.11:
	s_or_saveexec_b64 s[0:1], s[0:1]
	v_mov_b64_e32 v[38:39], s[2:3]
	v_lshl_add_u64 v[12:13], v[2:3], 3, s[10:11]
	v_mov_b64_e32 v[2:3], s[2:3]
	v_mov_b64_e32 v[4:5], s[2:3]
	;; [unrolled: 1-line block ×9, first 2 shown]
                                        ; implicit-def: $vgpr42
                                        ; implicit-def: $vgpr10
                                        ; implicit-def: $vgpr20
                                        ; implicit-def: $vgpr22
                                        ; implicit-def: $vgpr30
                                        ; implicit-def: $vgpr36
                                        ; implicit-def: $vgpr40
                                        ; implicit-def: $vgpr32
                                        ; implicit-def: $vgpr16
                                        ; implicit-def: $vgpr8
	s_xor_b64 exec, exec, s[0:1]
	s_cbranch_execz .LBB0_13
; %bb.12:
	v_mad_u64_u32 v[0:1], s[2:3], s8, v78, 0
	v_mov_b32_e32 v2, v1
	v_mad_u64_u32 v[2:3], s[2:3], s9, v78, v[2:3]
	v_add_u32_e32 v5, 0x276, v78
	v_mov_b32_e32 v1, v2
	v_mad_u64_u32 v[2:3], s[2:3], s8, v5, 0
	v_mov_b32_e32 v4, v3
	v_mad_u64_u32 v[4:5], s[2:3], s9, v5, v[4:5]
	v_mov_b32_e32 v3, v4
	v_lshl_add_u64 v[4:5], v[2:3], 3, v[12:13]
	v_mad_u64_u32 v[2:3], s[2:3], s8, v65, 0
	v_mov_b32_e32 v6, v3
	v_mad_u64_u32 v[6:7], s[2:3], s9, v65, v[6:7]
	v_mov_b32_e32 v3, v6
	v_add_u32_e32 v9, 0x2b5, v78
	v_lshl_add_u64 v[6:7], v[2:3], 3, v[12:13]
	v_mad_u64_u32 v[2:3], s[2:3], s8, v9, 0
	v_mov_b32_e32 v8, v3
	v_mad_u64_u32 v[8:9], s[2:3], s9, v9, v[8:9]
	v_lshl_add_u64 v[0:1], v[0:1], 3, v[12:13]
	v_mov_b32_e32 v3, v8
	v_add_u32_e32 v79, 0x7e, v78
	v_lshl_add_u64 v[10:11], v[2:3], 3, v[12:13]
	global_load_dwordx2 v[38:39], v[0:1], off
	global_load_dwordx2 v[42:43], v[4:5], off
	;; [unrolled: 1-line block ×4, first 2 shown]
	v_mad_u64_u32 v[0:1], s[2:3], s8, v79, 0
	v_mov_b32_e32 v4, v1
	v_mad_u64_u32 v[4:5], s[2:3], s9, v79, v[4:5]
	v_add_u32_e32 v7, 0x2f4, v78
	v_mov_b32_e32 v1, v4
	v_mad_u64_u32 v[4:5], s[2:3], s8, v7, 0
	v_mov_b32_e32 v6, v5
	v_mad_u64_u32 v[6:7], s[2:3], s9, v7, v[6:7]
	v_mov_b32_e32 v5, v6
	v_add_u32_e32 v50, 0xbd, v78
	v_lshl_add_u64 v[14:15], v[4:5], 3, v[12:13]
	v_mad_u64_u32 v[4:5], s[2:3], s8, v50, 0
	v_mov_b32_e32 v6, v5
	v_mad_u64_u32 v[6:7], s[2:3], s9, v50, v[6:7]
	v_mov_b32_e32 v5, v6
	v_add_u32_e32 v7, 0x333, v78
	v_lshl_add_u64 v[18:19], v[4:5], 3, v[12:13]
	v_mad_u64_u32 v[4:5], s[2:3], s8, v7, 0
	v_mov_b32_e32 v6, v5
	v_mad_u64_u32 v[6:7], s[2:3], s9, v7, v[6:7]
	v_lshl_add_u64 v[0:1], v[0:1], 3, v[12:13]
	v_mov_b32_e32 v5, v6
	v_lshl_add_u64 v[20:21], v[4:5], 3, v[12:13]
	global_load_dwordx2 v[4:5], v[0:1], off
	global_load_dwordx2 v[16:17], v[14:15], off
	;; [unrolled: 1-line block ×4, first 2 shown]
	v_add_u32_e32 v0, 0xfc, v78
	v_mad_u64_u32 v[14:15], s[2:3], s8, v0, 0
	v_mov_b32_e32 v18, v15
	v_mad_u64_u32 v[18:19], s[2:3], s9, v0, v[18:19]
	v_mov_b32_e32 v15, v18
	v_add_u32_e32 v19, 0x372, v78
	v_lshl_add_u64 v[24:25], v[14:15], 3, v[12:13]
	v_mad_u64_u32 v[14:15], s[2:3], s8, v19, 0
	v_mov_b32_e32 v18, v15
	v_mad_u64_u32 v[18:19], s[2:3], s9, v19, v[18:19]
	v_add_u32_e32 v1, 0x13b, v78
	v_mov_b32_e32 v15, v18
	v_lshl_add_u64 v[26:27], v[14:15], 3, v[12:13]
	v_mad_u64_u32 v[14:15], s[2:3], s8, v1, 0
	v_mov_b32_e32 v18, v15
	v_mad_u64_u32 v[18:19], s[2:3], s9, v1, v[18:19]
	v_mov_b32_e32 v15, v18
	v_add_u32_e32 v19, 0x3b1, v78
	v_lshl_add_u64 v[28:29], v[14:15], 3, v[12:13]
	v_mad_u64_u32 v[14:15], s[2:3], s8, v19, 0
	v_mov_b32_e32 v18, v15
	v_mad_u64_u32 v[18:19], s[2:3], s9, v19, v[18:19]
	v_mov_b32_e32 v15, v18
	v_add_u32_e32 v51, 0x17a, v78
	v_lshl_add_u64 v[30:31], v[14:15], 3, v[12:13]
	global_load_dwordx2 v[14:15], v[24:25], off
	global_load_dwordx2 v[20:21], v[26:27], off
	;; [unrolled: 1-line block ×4, first 2 shown]
	v_mad_u64_u32 v[24:25], s[2:3], s8, v51, 0
	v_mov_b32_e32 v26, v25
	v_mad_u64_u32 v[26:27], s[2:3], s9, v51, v[26:27]
	v_mov_b32_e32 v25, v26
	v_add_u32_e32 v27, 0x3f0, v78
	v_lshl_add_u64 v[28:29], v[24:25], 3, v[12:13]
	v_mad_u64_u32 v[24:25], s[2:3], s8, v27, 0
	v_mov_b32_e32 v26, v25
	v_mad_u64_u32 v[26:27], s[2:3], s9, v27, v[26:27]
	v_mov_b32_e32 v25, v26
	v_add_u32_e32 v54, 0x1b9, v78
	v_lshl_add_u64 v[34:35], v[24:25], 3, v[12:13]
	;; [unrolled: 6-line block ×4, first 2 shown]
	global_load_dwordx2 v[24:25], v[28:29], off
	global_load_dwordx2 v[32:33], v[34:35], off
	;; [unrolled: 1-line block ×4, first 2 shown]
	v_mad_u64_u32 v[28:29], s[2:3], s8, v55, 0
	v_mov_b32_e32 v34, v29
	v_mad_u64_u32 v[34:35], s[2:3], s9, v55, v[34:35]
	v_mov_b32_e32 v29, v34
	v_add_u32_e32 v35, 0x46e, v78
	v_lshl_add_u64 v[44:45], v[28:29], 3, v[12:13]
	v_mad_u64_u32 v[28:29], s[2:3], s8, v35, 0
	v_mov_b32_e32 v34, v29
	v_mad_u64_u32 v[34:35], s[2:3], s9, v35, v[34:35]
	v_mov_b32_e32 v29, v34
	v_add_u32_e32 v56, 0x237, v78
	v_lshl_add_u64 v[46:47], v[28:29], 3, v[12:13]
	;; [unrolled: 6-line block ×3, first 2 shown]
	v_mad_u64_u32 v[28:29], s[2:3], s8, v35, 0
	v_mov_b32_e32 v34, v29
	v_mad_u64_u32 v[34:35], s[2:3], s9, v35, v[34:35]
	v_mov_b32_e32 v29, v34
	v_lshl_add_u64 v[52:53], v[28:29], 3, v[12:13]
	global_load_dwordx2 v[28:29], v[44:45], off
	global_load_dwordx2 v[40:41], v[46:47], off
	global_load_dwordx2 v[34:35], v[48:49], off
	global_load_dwordx2 v[36:37], v[52:53], off
	v_mov_b32_e32 v64, v65
.LBB0_13:
	s_or_b64 exec, exec, s[0:1]
	s_waitcnt vmcnt(18)
	v_sub_f32_e32 v71, v39, v43
	v_sub_f32_e32 v45, v38, v42
	v_fma_f32 v70, v39, 2.0, -v71
	s_waitcnt vmcnt(16)
	v_sub_f32_e32 v39, v2, v8
	v_fma_f32 v44, v38, 2.0, -v45
	v_fma_f32 v38, v2, 2.0, -v39
	v_lshl_add_u32 v2, v78, 3, 0
	v_lshl_add_u32 v57, v64, 3, 0
	s_waitcnt vmcnt(14)
	v_sub_f32_e32 v43, v4, v16
	s_waitcnt vmcnt(12)
	v_sub_f32_e32 v47, v6, v10
	;; [unrolled: 2-line block ×3, first 2 shown]
	ds_write_b64 v2, v[44:45]
	s_waitcnt vmcnt(8)
	v_sub_f32_e32 v45, v18, v22
	ds_write_b64 v57, v[38:39]
	s_waitcnt vmcnt(6)
	v_sub_f32_e32 v39, v24, v32
	v_fma_f32 v42, v4, 2.0, -v43
	v_fma_f32 v46, v6, 2.0, -v47
	v_fma_f32 v48, v14, 2.0, -v49
	v_fma_f32 v44, v18, 2.0, -v45
	v_lshl_add_u32 v58, v79, 3, 0
	v_fma_f32 v38, v24, 2.0, -v39
	v_lshl_add_u32 v59, v50, 3, 0
	v_lshl_add_u32 v60, v0, 3, 0
	;; [unrolled: 1-line block ×4, first 2 shown]
	ds_write_b64 v58, v[42:43]
	ds_write_b64 v59, v[46:47]
	;; [unrolled: 1-line block ×3, first 2 shown]
	s_waitcnt vmcnt(4)
	v_sub_f32_e32 v43, v26, v30
	ds_write_b64 v61, v[44:45]
	ds_write_b64 v18, v[38:39]
	s_waitcnt vmcnt(2)
	v_sub_f32_e32 v39, v28, v40
	v_fma_f32 v42, v26, 2.0, -v43
	v_fma_f32 v38, v28, 2.0, -v39
	v_lshl_add_u32 v20, v54, 3, 0
	v_lshl_add_u32 v52, v55, 3, 0
	v_lshlrev_b32_e32 v4, 2, v78
	ds_write_b64 v20, v[42:43]
	ds_write_b64 v52, v[38:39]
	s_waitcnt vmcnt(0)
	v_sub_f32_e32 v39, v34, v36
	v_sub_u32_e32 v68, v2, v4
	v_lshlrev_b32_e32 v4, 2, v54
	v_lshlrev_b32_e32 v72, 2, v64
	v_sub_f32_e32 v9, v3, v9
	v_fma_f32 v38, v34, 2.0, -v39
	v_lshl_add_u32 v22, v56, 3, 0
	v_sub_u32_e32 v26, v20, v4
	v_lshlrev_b32_e32 v4, 2, v56
	v_sub_u32_e32 v73, v57, v72
	v_lshlrev_b32_e32 v74, 2, v79
	v_lshlrev_b32_e32 v80, 2, v50
	v_lshlrev_b32_e32 v102, 2, v0
	v_lshlrev_b32_e32 v103, 2, v1
	v_lshlrev_b32_e32 v95, 2, v51
	v_lshlrev_b32_e32 v53, 2, v55
	v_fma_f32 v8, v3, 2.0, -v9
	v_sub_f32_e32 v3, v5, v17
	ds_write_b64 v22, v[38:39]
	s_waitcnt lgkmcnt(0)
	; wave barrier
	s_waitcnt lgkmcnt(0)
	v_sub_u32_e32 v30, v22, v4
	v_add_u32_e32 v62, 0x800, v68
	v_sub_u32_e32 v99, v58, v74
	v_add_u32_e32 v32, 0xa00, v68
	v_sub_u32_e32 v100, v59, v80
	v_sub_u32_e32 v101, v60, v102
	v_add_u32_e32 v66, 0xc00, v68
	v_sub_u32_e32 v104, v61, v103
	;; [unrolled: 3-line block ×3, first 2 shown]
	ds_read_b32 v87, v73
	ds_read_b32 v88, v99
	;; [unrolled: 1-line block ×8, first 2 shown]
	v_add_u32_e32 v67, 0x1000, v68
	ds_read_b32 v36, v68
	ds_read_b32 v105, v30
	ds_read2_b32 v[48:49], v62 offset0:118 offset1:181
	ds_read2_b32 v[46:47], v32 offset0:116 offset1:179
	;; [unrolled: 1-line block ×5, first 2 shown]
	s_waitcnt lgkmcnt(0)
	; wave barrier
	s_waitcnt lgkmcnt(0)
	ds_write_b64 v2, v[70:71]
	v_fma_f32 v2, v5, 2.0, -v3
	v_sub_f32_e32 v5, v7, v11
	v_fma_f32 v4, v7, 2.0, -v5
	v_sub_f32_e32 v7, v15, v21
	;; [unrolled: 2-line block ×3, first 2 shown]
	v_sub_f32_e32 v15, v25, v33
	v_sub_f32_e32 v17, v27, v31
	v_fma_f32 v10, v19, 2.0, -v11
	v_fma_f32 v14, v25, 2.0, -v15
	;; [unrolled: 1-line block ×3, first 2 shown]
	ds_write_b64 v57, v[8:9]
	ds_write_b64 v58, v[2:3]
	;; [unrolled: 1-line block ×7, first 2 shown]
	v_sub_f32_e32 v3, v29, v41
	v_sub_f32_e32 v5, v35, v37
	v_fma_f32 v2, v29, 2.0, -v3
	v_fma_f32 v4, v35, 2.0, -v5
	ds_write_b64 v52, v[2:3]
	ds_write_b64 v22, v[4:5]
	v_and_b32_e32 v4, 1, v78
	v_lshlrev_b32_e32 v2, 3, v4
	s_waitcnt lgkmcnt(0)
	; wave barrier
	s_waitcnt lgkmcnt(0)
	global_load_dwordx2 v[2:3], v2, s[4:5]
	v_and_b32_e32 v5, 1, v64
	v_lshlrev_b32_e32 v6, 3, v5
	global_load_dwordx2 v[20:21], v6, s[4:5]
	v_and_b32_e32 v6, 1, v50
	v_lshlrev_b32_e32 v7, 3, v6
	;; [unrolled: 3-line block ×4, first 2 shown]
	ds_read_b32 v70, v26
	ds_read_b32 v69, v28
	ds_read2_b32 v[26:27], v62 offset0:118 offset1:181
	global_load_dwordx2 v[28:29], v9, s[4:5]
	v_and_b32_e32 v11, 1, v56
	v_lshlrev_b32_e32 v14, 3, v11
	ds_read_b32 v75, v30
	ds_read_b32 v84, v73
	;; [unrolled: 1-line block ×8, first 2 shown]
	ds_read2_b32 v[40:41], v32 offset0:116 offset1:179
	global_load_dwordx2 v[30:31], v14, s[4:5]
	s_movk_i32 s0, 0x7c
	v_lshlrev_b32_e32 v14, 1, v78
	v_and_or_b32 v14, v14, s0, v4
	v_lshl_add_u32 v86, v14, 2, 0
	s_movk_i32 s0, 0xfc
	s_movk_i32 s1, 0x2fc
	v_sub_u32_e32 v97, 0, v72
	v_sub_u32_e32 v96, 0, v74
	v_cmp_lt_u32_e64 s[2:3], 41, v78
	s_waitcnt vmcnt(5) lgkmcnt(9)
	v_mul_f32_e32 v9, v26, v3
	v_fma_f32 v9, v48, v2, -v9
	v_sub_f32_e32 v9, v36, v9
	v_fma_f32 v10, v36, 2.0, -v9
	ds_read2_b32 v[36:37], v66 offset0:114 offset1:177
	ds_read2_b32 v[34:35], v63 offset0:112 offset1:175
	;; [unrolled: 1-line block ×3, first 2 shown]
	s_waitcnt lgkmcnt(0)
	; wave barrier
	s_waitcnt lgkmcnt(0)
	ds_write2_b32 v86, v10, v9 offset1:2
	v_lshlrev_b32_e32 v9, 1, v64
	v_and_or_b32 v5, v9, s0, v5
	s_waitcnt vmcnt(4)
	v_mul_f32_e32 v9, v27, v21
	v_fma_f32 v9, v49, v20, -v9
	v_sub_f32_e32 v9, v87, v9
	v_fma_f32 v10, v87, 2.0, -v9
	v_lshl_add_u32 v87, v5, 2, 0
	v_mul_f32_e32 v5, v40, v3
	ds_write2_b32 v87, v10, v9 offset1:2
	v_fma_f32 v5, v46, v2, -v5
	s_movk_i32 s0, 0x1fc
	v_lshlrev_b32_e32 v10, 1, v79
	v_sub_f32_e32 v5, v88, v5
	v_and_or_b32 v10, v10, s0, v4
	v_fma_f32 v9, v88, 2.0, -v5
	v_lshl_add_u32 v88, v10, 2, 0
	ds_write2_b32 v88, v9, v5 offset1:2
	v_lshlrev_b32_e32 v5, 1, v50
	v_and_or_b32 v5, v5, s0, v6
	s_waitcnt vmcnt(3)
	v_mul_f32_e32 v6, v41, v23
	v_fma_f32 v6, v47, v22, -v6
	v_sub_f32_e32 v6, v89, v6
	v_fma_f32 v9, v89, 2.0, -v6
	v_lshl_add_u32 v89, v5, 2, 0
	v_mul_f32_e32 v5, v36, v3
	ds_write2_b32 v89, v9, v6 offset1:2
	v_fma_f32 v5, v44, v2, -v5
	s_movk_i32 s0, 0x3fc
	v_lshlrev_b32_e32 v9, 1, v0
	v_sub_f32_e32 v5, v90, v5
	v_and_or_b32 v9, v9, s0, v4
	v_fma_f32 v6, v90, 2.0, -v5
	v_lshl_add_u32 v90, v9, 2, 0
	ds_write2_b32 v90, v6, v5 offset1:2
	s_waitcnt vmcnt(2)
	v_mul_f32_e32 v6, v37, v25
	v_lshlrev_b32_e32 v5, 1, v1
	v_fma_f32 v6, v45, v24, -v6
	v_and_or_b32 v5, v5, s1, v7
	v_sub_f32_e32 v6, v91, v6
	v_fma_f32 v7, v91, 2.0, -v6
	v_lshl_add_u32 v91, v5, 2, 0
	v_mul_f32_e32 v5, v34, v3
	ds_write2_b32 v91, v7, v6 offset1:2
	v_fma_f32 v5, v42, v2, -v5
	v_lshlrev_b32_e32 v7, 1, v51
	v_sub_f32_e32 v5, v92, v5
	v_and_or_b32 v7, v7, s0, v4
	v_fma_f32 v6, v92, 2.0, -v5
	v_lshl_add_u32 v92, v7, 2, 0
	ds_write2_b32 v92, v6, v5 offset1:2
	s_waitcnt vmcnt(1)
	v_mul_f32_e32 v6, v35, v29
	v_lshlrev_b32_e32 v5, 1, v54
	v_fma_f32 v6, v43, v28, -v6
	v_and_or_b32 v5, v5, s0, v8
	v_sub_f32_e32 v6, v93, v6
	v_fma_f32 v7, v93, 2.0, -v6
	v_lshl_add_u32 v93, v5, 2, 0
	v_lshlrev_b32_e32 v5, 1, v55
	s_movk_i32 s0, 0x7fc
	v_and_or_b32 v4, v5, s0, v4
	v_mul_f32_e32 v5, v32, v3
	v_fma_f32 v5, v38, v2, -v5
	v_sub_f32_e32 v5, v94, v5
	ds_write2_b32 v93, v7, v6 offset1:2
	v_fma_f32 v6, v94, 2.0, -v5
	v_lshl_add_u32 v94, v4, 2, 0
	ds_write2_b32 v94, v6, v5 offset1:2
	v_sub_u32_e32 v5, 0, v95
	v_add_u32_e32 v54, v18, v5
	s_waitcnt vmcnt(0)
	v_mul_f32_e32 v5, v33, v31
	v_lshlrev_b32_e32 v4, 1, v56
	s_movk_i32 s0, 0x4fc
	v_fma_f32 v5, v39, v30, -v5
	v_and_or_b32 v4, v4, s0, v11
	v_sub_u32_e32 v95, 0, v80
	v_sub_f32_e32 v80, v105, v5
	v_lshl_add_u32 v98, v4, 2, 0
	v_fma_f32 v6, v105, 2.0, -v80
	ds_write2_b32 v98, v6, v80 offset1:2
	s_waitcnt lgkmcnt(0)
	; wave barrier
	s_waitcnt lgkmcnt(0)
	ds_read_b32 v73, v73
	ds_read_b32 v72, v99
	;; [unrolled: 1-line block ×6, first 2 shown]
	v_add_u32_e32 v101, 0x400, v68
	ds_read2_b32 v[18:19], v101 offset0:164 offset1:227
	ds_read2_b32 v[16:17], v66 offset0:72 offset1:135
	ds_read2_b32 v[14:15], v62 offset0:34 offset1:97
	ds_read2_b32 v[10:11], v63 offset0:70 offset1:133
	ds_read2_b32 v[8:9], v62 offset0:160 offset1:223
	ds_read2_b32 v[4:5], v67 offset0:68 offset1:131
	v_sub_u32_e32 v100, 0, v102
	v_sub_u32_e32 v99, 0, v103
	v_cmp_gt_u32_e64 s[0:1], 42, v78
                                        ; implicit-def: $vgpr7
	s_and_saveexec_b64 s[6:7], s[0:1]
	s_cbranch_execz .LBB0_15
; %bb.14:
	ds_read_b32 v6, v54
	ds_read_b32 v80, v68 offset:3192
	ds_read_b32 v7, v68 offset:4872
.LBB0_15:
	s_or_b64 exec, exec, s[6:7]
	v_mul_f32_e32 v48, v48, v3
	v_mul_f32_e32 v21, v49, v21
	;; [unrolled: 1-line block ×4, first 2 shown]
	v_fmac_f32_e32 v48, v26, v2
	v_fmac_f32_e32 v21, v27, v20
	v_mul_f32_e32 v20, v46, v3
	v_fmac_f32_e32 v23, v41, v22
	v_mul_f32_e32 v22, v44, v3
	;; [unrolled: 2-line block ×3, first 2 shown]
	v_mul_f32_e32 v26, v43, v29
	v_mul_f32_e32 v3, v38, v3
	v_fmac_f32_e32 v20, v40, v2
	v_fmac_f32_e32 v22, v36, v2
	;; [unrolled: 1-line block ×5, first 2 shown]
	v_mul_f32_e32 v2, v39, v31
	v_fmac_f32_e32 v2, v33, v30
	v_sub_f32_e32 v27, v85, v48
	v_sub_f32_e32 v21, v84, v21
	;; [unrolled: 1-line block ×9, first 2 shown]
	v_fma_f32 v28, v85, 2.0, -v27
	v_fma_f32 v29, v84, 2.0, -v21
	;; [unrolled: 1-line block ×9, first 2 shown]
	v_sub_f32_e32 v39, v75, v2
	v_add_u32_e32 v70, v57, v97
	v_fma_f32 v3, v75, 2.0, -v39
	s_waitcnt lgkmcnt(0)
	; wave barrier
	s_waitcnt lgkmcnt(0)
	ds_write2_b32 v86, v28, v27 offset1:2
	ds_write2_b32 v87, v29, v21 offset1:2
	;; [unrolled: 1-line block ×10, first 2 shown]
	s_waitcnt lgkmcnt(0)
	; wave barrier
	s_waitcnt lgkmcnt(0)
	ds_read2_b32 v[34:35], v101 offset0:164 offset1:227
	ds_read2_b32 v[32:33], v66 offset0:72 offset1:135
	;; [unrolled: 1-line block ×4, first 2 shown]
	v_add_u32_e32 v36, v59, v95
	v_add_u32_e32 v37, v60, v100
	ds_read_b32 v44, v70
	ds_read_b32 v42, v36
	;; [unrolled: 1-line block ×3, first 2 shown]
	ds_read2_b32 v[30:31], v62 offset0:160 offset1:223
	ds_read2_b32 v[26:27], v67 offset0:68 offset1:131
	v_add_u32_e32 v69, v58, v96
	v_add_u32_e32 v38, v61, v99
	ds_read_b32 v48, v68
	ds_read_b32 v46, v69
	;; [unrolled: 1-line block ×3, first 2 shown]
                                        ; implicit-def: $vgpr40
	s_and_saveexec_b64 s[6:7], s[0:1]
	s_cbranch_execz .LBB0_17
; %bb.16:
	ds_read_b32 v3, v54
	ds_read_b32 v39, v68 offset:3192
	ds_read_b32 v40, v68 offset:4872
.LBB0_17:
	s_or_b64 exec, exec, s[6:7]
	v_and_b32_e32 v43, 3, v78
	v_lshlrev_b32_e32 v2, 4, v43
	v_and_b32_e32 v47, 3, v64
	global_load_dwordx4 v[88:91], v2, s[4:5] offset:16
	v_lshlrev_b32_e32 v2, 4, v47
	v_and_b32_e32 v49, 3, v79
	global_load_dwordx4 v[92:95], v2, s[4:5] offset:16
	;; [unrolled: 3-line block ×4, first 2 shown]
	v_lshlrev_b32_e32 v2, 4, v113
	global_load_dwordx4 v[104:107], v2, s[4:5] offset:16
	v_and_b32_e32 v57, 3, v51
	v_lshlrev_b32_e32 v2, 4, v57
	global_load_dwordx4 v[108:111], v2, s[4:5] offset:16
	s_waitcnt lgkmcnt(0)
	; wave barrier
	s_waitcnt vmcnt(5) lgkmcnt(0)
	v_mul_f32_e32 v81, v34, v89
	v_mul_f32_e32 v76, v18, v89
	;; [unrolled: 1-line block ×3, first 2 shown]
	s_waitcnt vmcnt(4)
	v_mul_f32_e32 v83, v35, v93
	v_mul_f32_e32 v85, v33, v95
	;; [unrolled: 1-line block ×4, first 2 shown]
	s_waitcnt vmcnt(3)
	v_mul_f32_e32 v93, v28, v97
	v_mul_f32_e32 v63, v14, v97
	;; [unrolled: 1-line block ×3, first 2 shown]
	s_waitcnt vmcnt(2)
	v_mul_f32_e32 v97, v29, v101
	v_mul_f32_e32 v61, v15, v101
	;; [unrolled: 1-line block ×5, first 2 shown]
	v_fma_f32 v86, v18, v88, -v81
	v_fma_f32 v84, v19, v92, -v83
	;; [unrolled: 1-line block ×3, first 2 shown]
	v_mul_f32_e32 v77, v16, v91
	v_mul_f32_e32 v66, v10, v99
	;; [unrolled: 1-line block ×4, first 2 shown]
	s_waitcnt vmcnt(1)
	v_mul_f32_e32 v91, v31, v105
	v_fma_f32 v87, v16, v90, -v82
	v_fmac_f32_e32 v67, v35, v92
	v_fmac_f32_e32 v75, v33, v94
	v_fma_f32 v82, v14, v96, -v93
	v_fma_f32 v83, v10, v98, -v95
	;; [unrolled: 1-line block ×3, first 2 shown]
	v_add_f32_e32 v4, v74, v86
	v_add_f32_e32 v10, v84, v85
	v_mul_f32_e32 v62, v11, v103
	v_mul_f32_e32 v2, v9, v105
	v_fma_f32 v81, v11, v102, -v99
	v_fmac_f32_e32 v59, v30, v88
	v_fma_f32 v30, v9, v104, -v91
	v_add_f32_e32 v9, v73, v84
	v_sub_f32_e32 v11, v67, v75
	v_add_f32_e32 v14, v4, v87
	v_fmac_f32_e32 v73, -0.5, v10
	v_add_f32_e32 v4, v72, v82
	v_fmac_f32_e32 v63, v28, v96
	v_fmac_f32_e32 v66, v20, v98
	v_fmamk_f32 v16, v11, 0x3f5db3d7, v73
	v_fmac_f32_e32 v73, 0xbf5db3d7, v11
	v_add_f32_e32 v11, v4, v83
	v_add_f32_e32 v4, v82, v83
	s_waitcnt vmcnt(0)
	v_mul_f32_e32 v24, v80, v108
	v_mul_f32_e32 v25, v80, v109
	v_fma_f32 v80, v15, v100, -v97
	v_fmac_f32_e32 v72, -0.5, v4
	v_sub_f32_e32 v4, v63, v66
	v_fmamk_f32 v17, v4, 0x3f5db3d7, v72
	v_fmac_f32_e32 v72, 0xbf5db3d7, v4
	v_add_f32_e32 v4, v71, v80
	v_fmac_f32_e32 v61, v29, v100
	v_fmac_f32_e32 v62, v21, v102
	v_add_f32_e32 v18, v4, v81
	v_add_f32_e32 v4, v80, v81
	v_fmac_f32_e32 v77, v32, v90
	v_fma_f32 v32, v8, v88, -v101
	v_fmac_f32_e32 v71, -0.5, v4
	v_sub_f32_e32 v4, v61, v62
	v_fmamk_f32 v19, v4, 0x3f5db3d7, v71
	v_fmac_f32_e32 v71, 0xbf5db3d7, v4
	v_add_f32_e32 v4, v56, v32
	v_fmac_f32_e32 v60, v26, v90
	v_add_f32_e32 v20, v4, v33
	v_add_f32_e32 v4, v32, v33
	v_mul_f32_e32 v103, v27, v107
	v_fmac_f32_e32 v56, -0.5, v4
	v_sub_f32_e32 v4, v59, v60
	v_mul_f32_e32 v58, v5, v107
	v_mul_f32_e32 v23, v7, v111
	v_fmac_f32_e32 v2, v31, v104
	v_fma_f32 v31, v5, v106, -v103
	v_fmamk_f32 v21, v4, 0x3f5db3d7, v56
	v_fmac_f32_e32 v56, 0xbf5db3d7, v4
	v_add_f32_e32 v4, v55, v30
	v_mul_f32_e32 v22, v39, v109
	v_mul_f32_e32 v105, v40, v111
	v_fmac_f32_e32 v76, v34, v88
	v_fmac_f32_e32 v58, v27, v106
	;; [unrolled: 1-line block ×4, first 2 shown]
	v_add_f32_e32 v5, v86, v87
	v_add_f32_e32 v34, v4, v31
	v_add_f32_e32 v4, v30, v31
	v_sub_f32_e32 v8, v76, v77
	v_fmac_f32_e32 v74, -0.5, v5
	v_fmac_f32_e32 v55, -0.5, v4
	v_sub_f32_e32 v4, v2, v58
	v_fma_f32 v26, v7, v110, -v105
	v_pk_add_f32 v[28:29], v[24:25], v[22:23] neg_lo:[0,1] neg_hi:[0,1]
	v_mov_b32_e32 v7, 0x3f5db3d7
	v_add_f32_e32 v15, v9, v85
	v_fmamk_f32 v10, v8, 0x3f5db3d7, v74
	v_fmac_f32_e32 v74, 0xbf5db3d7, v8
	v_fmamk_f32 v35, v4, 0x3f5db3d7, v55
	v_fmac_f32_e32 v55, 0xbf5db3d7, v4
	v_pk_add_f32 v[4:5], v[6:7], v[28:29]
	v_pk_mul_f32 v[8:9], v[6:7], v[28:29]
	v_add_f32_e32 v7, v28, v26
	v_fmac_f32_e32 v6, -0.5, v7
	v_lshrrev_b32_e32 v7, 2, v78
	v_mul_u32_u24_e32 v7, 12, v7
	v_or_b32_e32 v7, v7, v43
	v_lshl_add_u32 v22, v7, 2, 0
	v_lshrrev_b32_e32 v7, 2, v64
	v_mul_lo_u32 v7, v7, 12
	v_or_b32_e32 v7, v7, v47
	v_lshl_add_u32 v24, v7, 2, 0
	v_lshrrev_b32_e32 v7, 2, v79
	v_mul_lo_u32 v7, v7, 12
	v_mov_b32_e32 v5, v9
	v_mov_b32_e32 v27, v6
	v_or_b32_e32 v7, v7, v49
	v_pk_add_f32 v[4:5], v[4:5], v[26:27]
	v_lshl_add_u32 v27, v7, 2, 0
	v_lshrrev_b32_e32 v7, 2, v50
	v_mul_lo_u32 v7, v7, 12
	v_or_b32_e32 v7, v7, v112
	v_lshl_add_u32 v29, v7, 2, 0
	v_lshrrev_b32_e32 v7, 2, v0
	v_mul_lo_u32 v7, v7, 12
	v_or_b32_e32 v7, v7, v43
	ds_write2_b32 v22, v14, v10 offset1:4
	ds_write_b32 v22, v74 offset:32
	ds_write2_b32 v24, v15, v16 offset1:4
	ds_write_b32 v24, v73 offset:32
	;; [unrolled: 2-line block ×4, first 2 shown]
	v_lshl_add_u32 v71, v7, 2, 0
	v_lshrrev_b32_e32 v7, 2, v1
	v_mul_lo_u32 v7, v7, 12
	v_or_b32_e32 v7, v7, v113
	ds_write2_b32 v71, v20, v21 offset1:4
	ds_write_b32 v71, v56 offset:32
	v_lshl_add_u32 v56, v7, 2, 0
	ds_write2_b32 v56, v34, v35 offset1:4
	ds_write_b32 v56, v55 offset:32
	s_and_saveexec_b64 s[6:7], s[2:3]
	s_xor_b64 s[6:7], exec, s[6:7]
	s_or_saveexec_b64 s[6:7], s[6:7]
	v_sub_f32_e32 v49, v6, v9
	v_lshrrev_b32_e32 v55, 2, v51
	s_xor_b64 exec, exec, s[6:7]
	s_cbranch_execz .LBB0_19
; %bb.18:
	v_mul_lo_u32 v6, v55, 12
	v_or_b32_e32 v6, v6, v57
	v_lshl_add_u32 v6, v6, 2, 0
	ds_write2_b32 v6, v4, v5 offset1:4
	ds_write_b32 v6, v49 offset:32
.LBB0_19:
	s_or_b64 exec, exec, s[6:7]
	v_add_u32_e32 v6, 0x400, v68
	s_waitcnt lgkmcnt(0)
	; wave barrier
	s_waitcnt lgkmcnt(0)
	ds_read2_b32 v[18:19], v6 offset0:164 offset1:227
	v_add_u32_e32 v6, 0xc00, v68
	ds_read2_b32 v[20:21], v6 offset0:72 offset1:135
	v_add_u32_e32 v6, 0x800, v68
	v_add_u32_e32 v7, 0xe00, v68
	ds_read2_b32 v[14:15], v6 offset0:34 offset1:97
	ds_read2_b32 v[16:17], v7 offset0:70 offset1:133
	ds_read_b32 v40, v70
	ds_read_b32 v39, v36
	;; [unrolled: 1-line block ×3, first 2 shown]
	ds_read2_b32 v[10:11], v6 offset0:160 offset1:223
	v_add_u32_e32 v6, 0x1000, v68
	ds_read2_b32 v[8:9], v6 offset0:68 offset1:131
	ds_read_b32 v47, v68
	ds_read_b32 v43, v69
	;; [unrolled: 1-line block ×3, first 2 shown]
	s_and_saveexec_b64 s[6:7], s[0:1]
	s_cbranch_execz .LBB0_21
; %bb.20:
	ds_read_b32 v4, v54
	ds_read_b32 v5, v68 offset:3192
	ds_read_b32 v49, v68 offset:4872
.LBB0_21:
	s_or_b64 exec, exec, s[6:7]
	v_add_f32_e32 v6, v48, v76
	v_add_f32_e32 v72, v6, v77
	v_add_f32_e32 v6, v76, v77
	v_fmac_f32_e32 v48, -0.5, v6
	v_sub_f32_e32 v6, v86, v87
	v_fmamk_f32 v73, v6, 0xbf5db3d7, v48
	v_fmac_f32_e32 v48, 0x3f5db3d7, v6
	v_add_f32_e32 v6, v44, v67
	v_add_f32_e32 v74, v6, v75
	v_add_f32_e32 v6, v67, v75
	v_fmac_f32_e32 v44, -0.5, v6
	v_sub_f32_e32 v6, v84, v85
	v_fmamk_f32 v67, v6, 0xbf5db3d7, v44
	v_fmac_f32_e32 v44, 0x3f5db3d7, v6
	;; [unrolled: 7-line block ×5, first 2 shown]
	v_add_f32_e32 v6, v45, v2
	v_add_f32_e32 v2, v2, v58
	v_fmac_f32_e32 v45, -0.5, v2
	v_sub_f32_e32 v2, v30, v31
	v_add_f32_e32 v33, v6, v58
	v_fmamk_f32 v30, v2, 0xbf5db3d7, v45
	v_fmac_f32_e32 v45, 0x3f5db3d7, v2
	v_add_f32_e32 v2, v3, v25
	v_add_f32_e32 v6, v25, v23
	v_sub_f32_e32 v25, v28, v26
	v_fmac_f32_e32 v3, -0.5, v6
	v_mul_f32_e32 v7, 0x3f5db3d7, v25
	v_mov_b32_e32 v6, v23
	v_pk_add_f32 v[6:7], v[2:3], v[6:7]
	s_waitcnt lgkmcnt(0)
	; wave barrier
	s_waitcnt lgkmcnt(0)
	ds_write2_b32 v22, v72, v73 offset1:4
	ds_write_b32 v22, v48 offset:32
	ds_write2_b32 v24, v74, v67 offset1:4
	ds_write_b32 v24, v44 offset:32
	ds_write2_b32 v27, v75, v63 offset1:4
	ds_write_b32 v27, v46 offset:32
	ds_write2_b32 v29, v66, v61 offset1:4
	ds_write_b32 v29, v42 offset:32
	ds_write2_b32 v71, v62, v32 offset1:4
	ds_write_b32 v71, v41 offset:32
	ds_write2_b32 v56, v33, v30 offset1:4
	ds_write_b32 v56, v45 offset:32
	s_and_saveexec_b64 s[6:7], s[2:3]
	s_xor_b64 s[2:3], exec, s[6:7]
; %bb.22:
                                        ; implicit-def: $vgpr55
                                        ; implicit-def: $vgpr57
; %bb.23:
	s_or_saveexec_b64 s[2:3], s[2:3]
	v_fmac_f32_e32 v3, 0xbf5db3d7, v25
	s_xor_b64 exec, exec, s[2:3]
	s_cbranch_execz .LBB0_25
; %bb.24:
	v_mul_lo_u32 v2, v55, 12
	v_or_b32_e32 v2, v2, v57
	v_lshl_add_u32 v2, v2, 2, 0
	ds_write2_b32 v2, v6, v3 offset1:4
	ds_write_b32 v2, v7 offset:32
.LBB0_25:
	s_or_b64 exec, exec, s[2:3]
	v_add_u32_e32 v2, 0x400, v68
	s_waitcnt lgkmcnt(0)
	; wave barrier
	s_waitcnt lgkmcnt(0)
	ds_read2_b32 v[30:31], v2 offset0:164 offset1:227
	v_add_u32_e32 v2, 0xc00, v68
	ds_read2_b32 v[32:33], v2 offset0:72 offset1:135
	v_add_u32_e32 v22, 0x800, v68
	v_add_u32_e32 v2, 0xe00, v68
	ds_read2_b32 v[26:27], v22 offset0:34 offset1:97
	ds_read2_b32 v[28:29], v2 offset0:70 offset1:133
	ds_read_b32 v42, v70
	ds_read_b32 v41, v36
	;; [unrolled: 1-line block ×3, first 2 shown]
	ds_read2_b32 v[24:25], v22 offset0:160 offset1:223
	v_add_u32_e32 v22, 0x1000, v68
	ds_read2_b32 v[22:23], v22 offset0:68 offset1:131
	ds_read_b32 v46, v68
	ds_read_b32 v45, v69
	;; [unrolled: 1-line block ×3, first 2 shown]
	s_and_saveexec_b64 s[2:3], s[0:1]
	s_cbranch_execz .LBB0_27
; %bb.26:
	ds_read_b32 v6, v54
	ds_read_b32 v3, v68 offset:3192
	ds_read_b32 v7, v68 offset:4872
.LBB0_27:
	s_or_b64 exec, exec, s[2:3]
	s_movk_i32 s2, 0xab
	v_mul_lo_u16_sdwa v38, v78, s2 dst_sel:DWORD dst_unused:UNUSED_PAD src0_sel:BYTE_0 src1_sel:DWORD
	v_mul_lo_u16_sdwa v54, v64, s2 dst_sel:DWORD dst_unused:UNUSED_PAD src0_sel:BYTE_0 src1_sel:DWORD
	v_lshrrev_b16_e32 v66, 11, v38
	v_lshrrev_b16_e32 v71, 11, v54
	v_mul_lo_u16_e32 v38, 12, v66
	v_mul_lo_u16_e32 v54, 12, v71
	v_sub_u16_e32 v67, v78, v38
	v_mov_b32_e32 v38, 4
	v_sub_u16_e32 v76, v64, v54
	v_lshlrev_b32_sdwa v48, v38, v67 dst_sel:DWORD dst_unused:UNUSED_PAD src0_sel:DWORD src1_sel:BYTE_0
	v_lshlrev_b32_sdwa v54, v38, v76 dst_sel:DWORD dst_unused:UNUSED_PAD src0_sel:DWORD src1_sel:BYTE_0
	global_load_dwordx4 v[60:63], v48, s[4:5] offset:80
	global_load_dwordx4 v[72:75], v54, s[4:5] offset:80
	v_mul_lo_u16_sdwa v48, v79, s2 dst_sel:DWORD dst_unused:UNUSED_PAD src0_sel:BYTE_0 src1_sel:DWORD
	v_mul_lo_u16_sdwa v54, v50, s2 dst_sel:DWORD dst_unused:UNUSED_PAD src0_sel:BYTE_0 src1_sel:DWORD
	v_lshrrev_b16_e32 v77, 11, v48
	v_lshrrev_b16_e32 v101, 11, v54
	v_mul_lo_u16_e32 v48, 12, v77
	v_mul_lo_u16_e32 v54, 12, v101
	v_sub_u16_e32 v100, v79, v48
	v_sub_u16_e32 v102, v50, v54
	v_lshlrev_b32_sdwa v48, v38, v100 dst_sel:DWORD dst_unused:UNUSED_PAD src0_sel:DWORD src1_sel:BYTE_0
	v_lshlrev_b32_sdwa v38, v38, v102 dst_sel:DWORD dst_unused:UNUSED_PAD src0_sel:DWORD src1_sel:BYTE_0
	s_mov_b32 s2, 0xaaab
	global_load_dwordx4 v[80:83], v48, s[4:5] offset:80
	global_load_dwordx4 v[84:87], v38, s[4:5] offset:80
	v_mul_u32_u24_sdwa v38, v0, s2 dst_sel:DWORD dst_unused:UNUSED_PAD src0_sel:WORD_0 src1_sel:DWORD
	v_lshrrev_b32_e32 v103, 19, v38
	v_mul_lo_u16_e32 v38, 12, v103
	v_sub_u16_e32 v104, v0, v38
	v_mul_u32_u24_sdwa v38, v1, s2 dst_sel:DWORD dst_unused:UNUSED_PAD src0_sel:WORD_0 src1_sel:DWORD
	v_lshlrev_b32_e32 v0, 4, v104
	v_lshrrev_b32_e32 v105, 19, v38
	global_load_dwordx4 v[88:91], v0, s[4:5] offset:80
	v_mul_lo_u16_e32 v0, 12, v105
	v_sub_u16_e32 v106, v1, v0
	v_lshlrev_b32_e32 v0, 4, v106
	global_load_dwordx4 v[92:95], v0, s[4:5] offset:80
	v_mul_u32_u24_sdwa v0, v51, s2 dst_sel:DWORD dst_unused:UNUSED_PAD src0_sel:WORD_0 src1_sel:DWORD
	v_lshrrev_b32_e32 v107, 19, v0
	v_mul_lo_u16_e32 v0, 12, v107
	v_sub_u16_e32 v108, v51, v0
	v_lshlrev_b32_e32 v0, 4, v108
	global_load_dwordx4 v[96:99], v0, s[4:5] offset:80
	v_sub_u32_e32 v0, 0, v53
	s_waitcnt lgkmcnt(0)
	; wave barrier
	s_waitcnt lgkmcnt(0)
	s_mov_b32 s3, 0x5040100
	s_movk_i32 s2, 0x90
	s_waitcnt vmcnt(6)
	v_mul_f32_e32 v59, v30, v61
	v_mul_f32_e32 v57, v18, v61
	v_mul_f32_e32 v61, v32, v63
	v_mul_f32_e32 v58, v20, v63
	s_waitcnt vmcnt(5)
	v_mul_f32_e32 v63, v31, v73
	v_mul_f32_e32 v55, v19, v73
	;; [unrolled: 1-line block ×4, first 2 shown]
	v_fmac_f32_e32 v57, v30, v60
	v_fma_f32 v30, v19, v72, -v63
	v_fma_f32 v59, v18, v60, -v59
	;; [unrolled: 1-line block ×3, first 2 shown]
	s_waitcnt vmcnt(4)
	v_mul_f32_e32 v75, v26, v81
	v_mul_f32_e32 v53, v14, v81
	;; [unrolled: 1-line block ×4, first 2 shown]
	s_waitcnt vmcnt(3)
	v_mul_f32_e32 v83, v27, v85
	v_mul_f32_e32 v48, v15, v85
	;; [unrolled: 1-line block ×4, first 2 shown]
	v_fmac_f32_e32 v53, v26, v80
	s_waitcnt vmcnt(2)
	v_mul_f32_e32 v87, v24, v89
	v_mul_f32_e32 v1, v10, v89
	v_fma_f32 v26, v16, v82, -v81
	v_fma_f32 v16, v10, v88, -v87
	s_waitcnt vmcnt(1)
	v_mul_f32_e32 v10, v23, v95
	v_fma_f32 v19, v15, v84, -v83
	v_fma_f32 v15, v9, v94, -v10
	v_mul_f32_e32 v18, v9, v95
	v_fmac_f32_e32 v58, v32, v62
	v_fmac_f32_e32 v18, v23, v94
	s_waitcnt vmcnt(0)
	v_mul_f32_e32 v10, v5, v97
	v_mul_f32_e32 v9, v3, v97
	v_fmac_f32_e32 v10, v3, v96
	v_mul_f32_e32 v3, v7, v99
	v_fma_f32 v9, v5, v96, -v9
	v_fma_f32 v5, v49, v98, -v3
	v_mul_f32_e32 v3, v49, v99
	v_fmac_f32_e32 v3, v7, v98
	v_add_f32_e32 v7, v47, v59
	v_add_f32_e32 v23, v7, v60
	;; [unrolled: 1-line block ×3, first 2 shown]
	v_mul_f32_e32 v89, v22, v91
	v_mul_f32_e32 v38, v8, v91
	;; [unrolled: 1-line block ×3, first 2 shown]
	v_fmac_f32_e32 v47, -0.5, v7
	v_sub_f32_e32 v7, v57, v58
	v_fmac_f32_e32 v55, v31, v72
	v_fma_f32 v31, v21, v74, -v73
	v_fma_f32 v20, v17, v86, -v85
	v_fmac_f32_e32 v1, v24, v88
	v_fma_f32 v17, v8, v90, -v89
	v_fma_f32 v8, v11, v92, -v91
	v_mul_f32_e32 v11, v11, v93
	v_fmamk_f32 v24, v7, 0x3f5db3d7, v47
	v_fmac_f32_e32 v47, 0xbf5db3d7, v7
	v_add_f32_e32 v7, v40, v30
	v_fmac_f32_e32 v56, v33, v74
	v_fmac_f32_e32 v11, v25, v92
	v_add_f32_e32 v25, v7, v31
	v_add_f32_e32 v7, v30, v31
	v_fma_f32 v21, v14, v80, -v75
	v_fmac_f32_e32 v40, -0.5, v7
	v_sub_f32_e32 v7, v55, v56
	v_fmac_f32_e32 v48, v27, v84
	v_fmamk_f32 v27, v7, 0x3f5db3d7, v40
	v_fmac_f32_e32 v40, 0xbf5db3d7, v7
	v_add_f32_e32 v7, v43, v21
	v_fmac_f32_e32 v54, v28, v82
	v_add_f32_e32 v32, v7, v26
	v_add_f32_e32 v7, v21, v26
	v_fmac_f32_e32 v43, -0.5, v7
	v_sub_f32_e32 v7, v53, v54
	v_fmamk_f32 v33, v7, 0x3f5db3d7, v43
	v_fmac_f32_e32 v43, 0xbf5db3d7, v7
	v_add_f32_e32 v7, v39, v19
	v_fmac_f32_e32 v51, v29, v86
	v_add_f32_e32 v49, v7, v20
	v_add_f32_e32 v7, v19, v20
	v_mul_u32_u24_e32 v28, 0x90, v66
	v_mov_b32_e32 v66, 2
	v_fmac_f32_e32 v39, -0.5, v7
	v_sub_f32_e32 v7, v48, v51
	v_lshlrev_b32_sdwa v29, v66, v67 dst_sel:DWORD dst_unused:UNUSED_PAD src0_sel:DWORD src1_sel:BYTE_0
	v_fmamk_f32 v61, v7, 0x3f5db3d7, v39
	v_fmac_f32_e32 v39, 0xbf5db3d7, v7
	v_add_f32_e32 v7, v34, v16
	v_add3_u32 v28, 0, v28, v29
	v_fmac_f32_e32 v38, v22, v90
	v_add_f32_e32 v62, v7, v17
	v_add_f32_e32 v7, v16, v17
	ds_write2_b32 v28, v23, v24 offset1:12
	ds_write_b32 v28, v47 offset:96
	v_mul_u32_u24_e32 v23, 0x90, v71
	v_lshlrev_b32_sdwa v24, v66, v76 dst_sel:DWORD dst_unused:UNUSED_PAD src0_sel:DWORD src1_sel:BYTE_0
	v_fmac_f32_e32 v34, -0.5, v7
	v_sub_f32_e32 v7, v1, v38
	v_add3_u32 v29, 0, v23, v24
	v_mul_u32_u24_e32 v23, 0x90, v77
	v_lshlrev_b32_sdwa v24, v66, v100 dst_sel:DWORD dst_unused:UNUSED_PAD src0_sel:DWORD src1_sel:BYTE_0
	v_fmamk_f32 v63, v7, 0x3f5db3d7, v34
	v_fmac_f32_e32 v34, 0xbf5db3d7, v7
	v_add_f32_e32 v7, v35, v8
	ds_write2_b32 v29, v25, v27 offset1:12
	ds_write_b32 v29, v40 offset:96
	v_add3_u32 v40, 0, v23, v24
	v_mul_u32_u24_e32 v23, 0x90, v101
	v_lshlrev_b32_sdwa v24, v66, v102 dst_sel:DWORD dst_unused:UNUSED_PAD src0_sel:DWORD src1_sel:BYTE_0
	v_add_f32_e32 v72, v7, v15
	v_add_f32_e32 v7, v8, v15
	ds_write2_b32 v40, v32, v33 offset1:12
	ds_write_b32 v40, v43 offset:96
	v_add3_u32 v43, 0, v23, v24
	v_perm_b32 v23, v105, v103, s3
	v_fmac_f32_e32 v35, -0.5, v7
	v_sub_f32_e32 v7, v11, v18
	v_pk_mul_lo_u16 v23, v23, s2 op_sel_hi:[1,0]
	v_fmamk_f32 v73, v7, 0x3f5db3d7, v35
	v_fmac_f32_e32 v35, 0xbf5db3d7, v7
	v_add_f32_e32 v7, v9, v5
	v_and_b32_e32 v24, 0xfff0, v23
	v_lshlrev_b32_e32 v25, 2, v104
	v_fma_f32 v7, -0.5, v7, v4
	v_sub_f32_e32 v22, v10, v3
	ds_write2_b32 v43, v49, v61 offset1:12
	ds_write_b32 v43, v39 offset:96
	v_add3_u32 v49, 0, v24, v25
	v_lshrrev_b32_e32 v23, 16, v23
	v_lshlrev_b32_e32 v24, 2, v106
	v_fmamk_f32 v14, v22, 0xbf5db3d7, v7
	v_add3_u32 v61, 0, v23, v24
	v_mul_lo_u16_e32 v39, 36, v107
	v_lshlrev_b32_e32 v47, 2, v108
	ds_write2_b32 v49, v62, v63 offset1:12
	ds_write_b32 v49, v34 offset:96
	ds_write2_b32 v61, v72, v73 offset1:12
	ds_write_b32 v61, v35 offset:96
	s_and_saveexec_b64 s[2:3], s[0:1]
	s_cbranch_execz .LBB0_29
; %bb.28:
	v_mul_f32_e32 v22, 0x3f5db3d7, v22
	v_add_f32_e32 v7, v22, v7
	v_add_f32_e32 v4, v4, v9
	v_lshlrev_b32_e32 v22, 2, v39
	v_add_f32_e32 v4, v4, v5
	v_add3_u32 v22, 0, v47, v22
	ds_write2_b32 v22, v4, v7 offset1:12
	ds_write_b32 v22, v14 offset:96
.LBB0_29:
	s_or_b64 exec, exec, s[2:3]
	v_add_f32_e32 v4, v46, v57
	v_add_f32_e32 v62, v4, v58
	v_add_f32_e32 v4, v57, v58
	v_fmac_f32_e32 v46, -0.5, v4
	v_sub_f32_e32 v4, v59, v60
	v_fmamk_f32 v57, v4, 0xbf5db3d7, v46
	v_fmac_f32_e32 v46, 0x3f5db3d7, v4
	v_add_f32_e32 v4, v42, v55
	v_add_f32_e32 v58, v4, v56
	v_add_f32_e32 v4, v55, v56
	v_fmac_f32_e32 v42, -0.5, v4
	v_sub_f32_e32 v4, v30, v31
	v_fmamk_f32 v55, v4, 0xbf5db3d7, v42
	v_fmac_f32_e32 v42, 0x3f5db3d7, v4
	;; [unrolled: 7-line block ×4, first 2 shown]
	v_add_f32_e32 v4, v2, v1
	v_add_f32_e32 v1, v1, v38
	v_fmac_f32_e32 v2, -0.5, v1
	v_sub_f32_e32 v1, v16, v17
	v_fmamk_f32 v66, v1, 0xbf5db3d7, v2
	v_fmac_f32_e32 v2, 0x3f5db3d7, v1
	v_add_f32_e32 v1, v44, v11
	v_add_f32_e32 v67, v1, v18
	;; [unrolled: 1-line block ×3, first 2 shown]
	v_fmac_f32_e32 v44, -0.5, v1
	v_sub_f32_e32 v1, v8, v15
	v_fmamk_f32 v71, v1, 0xbf5db3d7, v44
	v_fmac_f32_e32 v44, 0x3f5db3d7, v1
	v_add_f32_e32 v1, v10, v3
	v_add_u32_e32 v15, v52, v0
	v_add_u32_e32 v17, 0xa00, v68
	;; [unrolled: 1-line block ×8, first 2 shown]
	v_add_f32_e32 v63, v4, v38
	v_fma_f32 v11, -0.5, v1, v6
	v_sub_f32_e32 v53, v9, v5
	s_waitcnt lgkmcnt(0)
	; wave barrier
	s_waitcnt lgkmcnt(0)
	ds_read_b32 v0, v15
	ds_read2_b32 v[24:25], v17 offset0:116 offset1:179
	ds_read2_b32 v[26:27], v30 offset0:112 offset1:175
	ds_read_b32 v34, v70
	ds_read2_b32 v[4:5], v48 offset0:59 offset1:122
	ds_read2_b32 v[22:23], v31 offset0:57 offset1:183
	ds_read_b32 v38, v68
	ds_read_b32 v35, v69
	ds_read2_b32 v[20:21], v32 offset0:118 offset1:181
	ds_read2_b32 v[8:9], v33 offset0:114 offset1:177
	;; [unrolled: 1-line block ×3, first 2 shown]
	ds_read_b32 v7, v37
	ds_read_b32 v1, v36
	v_fmamk_f32 v16, v53, 0x3f5db3d7, v11
	s_waitcnt lgkmcnt(0)
	; wave barrier
	s_waitcnt lgkmcnt(0)
	ds_write2_b32 v28, v62, v57 offset1:12
	ds_write_b32 v28, v46 offset:96
	ds_write2_b32 v29, v58, v55 offset1:12
	ds_write_b32 v29, v42 offset:96
	;; [unrolled: 2-line block ×6, first 2 shown]
	s_and_saveexec_b64 s[2:3], s[0:1]
	s_cbranch_execz .LBB0_31
; %bb.30:
	v_add_f32_e32 v6, v6, v10
	v_mul_f32_e32 v2, 0x3f5db3d7, v53
	v_add_f32_e32 v3, v6, v3
	v_lshlrev_b32_e32 v6, 2, v39
	v_sub_f32_e32 v2, v11, v2
	v_add3_u32 v6, 0, v47, v6
	ds_write2_b32 v6, v3, v2 offset1:12
	ds_write_b32 v6, v16 offset:96
.LBB0_31:
	s_or_b64 exec, exec, s[2:3]
	v_subrev_u32_e32 v2, 36, v78
	v_cmp_gt_u32_e64 s[0:1], 36, v78
	v_mov_b32_e32 v11, 0
	v_mov_b32_e32 v6, 57
	v_cndmask_b32_e64 v2, v2, v78, s[0:1]
	v_lshlrev_b32_e32 v10, 2, v2
	v_lshl_add_u64 v[2:3], v[10:11], 3, s[4:5]
	s_waitcnt lgkmcnt(0)
	; wave barrier
	s_waitcnt lgkmcnt(0)
	global_load_dwordx4 v[40:43], v[2:3], off offset:272
	global_load_dwordx4 v[44:47], v[2:3], off offset:288
	v_mul_lo_u16_sdwa v2, v64, v6 dst_sel:DWORD dst_unused:UNUSED_PAD src0_sel:BYTE_0 src1_sel:DWORD
	v_lshrrev_b16_e32 v75, 11, v2
	v_mul_lo_u16_e32 v2, 36, v75
	v_mov_b32_e32 v39, 5
	v_sub_u16_e32 v49, v64, v2
	v_lshlrev_b32_sdwa v2, v39, v49 dst_sel:DWORD dst_unused:UNUSED_PAD src0_sel:DWORD src1_sel:BYTE_0
	global_load_dwordx4 v[80:83], v2, s[4:5] offset:272
	global_load_dwordx4 v[84:87], v2, s[4:5] offset:288
	ds_read_b32 v15, v15
	ds_read2_b32 v[28:29], v17 offset0:116 offset1:179
	ds_read2_b32 v[52:53], v30 offset0:112 offset1:175
	ds_read_b32 v11, v70
	ds_read2_b32 v[76:77], v48 offset0:59 offset1:122
	ds_read2_b32 v[100:101], v31 offset0:57 offset1:183
	ds_read_b32 v17, v68
	ds_read_b32 v2, v69
	ds_read2_b32 v[102:103], v32 offset0:118 offset1:181
	ds_read2_b32 v[104:105], v33 offset0:114 offset1:177
	;; [unrolled: 1-line block ×3, first 2 shown]
	ds_read_b32 v37, v37
	ds_read_b32 v3, v36
	v_mul_lo_u16_sdwa v48, v79, v6 dst_sel:DWORD dst_unused:UNUSED_PAD src0_sel:BYTE_0 src1_sel:DWORD
	v_mul_lo_u16_sdwa v6, v50, v6 dst_sel:DWORD dst_unused:UNUSED_PAD src0_sel:BYTE_0 src1_sel:DWORD
	v_lshrrev_b16_e32 v108, 11, v48
	v_lshrrev_b16_e32 v109, 11, v6
	v_mul_lo_u16_e32 v6, 36, v108
	v_mov_b32_e32 v36, 2
	v_mul_lo_u16_e32 v48, 36, v109
	v_sub_u16_e32 v6, v79, v6
	v_sub_u16_e32 v48, v50, v48
	v_lshlrev_b32_sdwa v111, v36, v6 dst_sel:DWORD dst_unused:UNUSED_PAD src0_sel:DWORD src1_sel:BYTE_0
	v_lshlrev_b32_sdwa v6, v39, v6 dst_sel:DWORD dst_unused:UNUSED_PAD src0_sel:DWORD src1_sel:BYTE_0
	;; [unrolled: 1-line block ×5, first 2 shown]
	global_load_dwordx4 v[48:51], v6, s[4:5] offset:288
	global_load_dwordx4 v[88:91], v6, s[4:5] offset:272
	;; [unrolled: 1-line block ×4, first 2 shown]
	s_mov_b32 s0, 0x3e9e377a
	s_mov_b32 s1, 0x3f167918
	s_mov_b32 s2, s1
	s_waitcnt lgkmcnt(0)
	; wave barrier
	s_waitcnt vmcnt(7) lgkmcnt(0)
	v_mul_f32_e32 v6, v37, v41
	v_mul_f32_e32 v36, v15, v43
	s_waitcnt vmcnt(6)
	v_mul_f32_e32 v39, v28, v45
	v_fma_f32 v71, v7, v40, -v6
	v_mul_f32_e32 v58, v7, v41
	v_mul_f32_e32 v59, v0, v43
	;; [unrolled: 1-line block ×5, first 2 shown]
	v_fma_f32 v72, v0, v42, -v36
	v_fma_f32 v73, v24, v44, -v39
	s_waitcnt vmcnt(5)
	v_mul_f32_e32 v0, v76, v81
	v_add_f32_e32 v24, v38, v71
	v_fmac_f32_e32 v58, v37, v40
	v_fma_f32 v74, v26, v46, -v41
	v_fmac_f32_e32 v61, v52, v46
	v_add_f32_e32 v26, v72, v73
	v_fma_f32 v62, v4, v80, -v0
	v_add_f32_e32 v0, v24, v72
	v_fmac_f32_e32 v59, v15, v42
	v_fmac_f32_e32 v60, v28, v44
	v_mul_f32_e32 v6, v101, v83
	v_mul_f32_e32 v55, v23, v83
	v_sub_f32_e32 v28, v58, v61
	v_fma_f32 v39, -0.5, v26, v38
	v_add_f32_e32 v0, v0, v73
	v_mul_f32_e32 v54, v4, v81
	v_fma_f32 v63, v23, v82, -v6
	v_fmac_f32_e32 v55, v101, v82
	v_fmamk_f32 v82, v28, 0x3f737871, v39
	v_add_f32_e32 v83, v0, v74
	v_sub_f32_e32 v0, v59, v60
	v_sub_f32_e32 v4, v71, v72
	v_sub_f32_e32 v6, v74, v73
	v_fmac_f32_e32 v39, 0xbf737871, v28
	v_fmac_f32_e32 v82, 0x3f167918, v0
	v_add_f32_e32 v4, v4, v6
	v_fmac_f32_e32 v39, 0xbf167918, v0
	v_fmac_f32_e32 v82, 0x3e9e377a, v4
	;; [unrolled: 1-line block ×3, first 2 shown]
	v_add_f32_e32 v4, v71, v74
	s_waitcnt vmcnt(4)
	v_mul_f32_e32 v7, v29, v85
	v_mul_f32_e32 v56, v25, v85
	v_fmac_f32_e32 v38, -0.5, v4
	v_fma_f32 v66, v25, v84, -v7
	v_fmac_f32_e32 v56, v29, v84
	v_fmamk_f32 v84, v0, 0xbf737871, v38
	v_fmac_f32_e32 v38, 0x3f737871, v0
	v_add_f32_e32 v0, v34, v62
	v_mul_f32_e32 v15, v53, v87
	v_add_f32_e32 v0, v0, v63
	v_mul_f32_e32 v57, v27, v87
	v_fma_f32 v67, v27, v86, -v15
	v_add_f32_e32 v0, v0, v66
	v_fmac_f32_e32 v54, v76, v80
	v_fmac_f32_e32 v57, v53, v86
	v_sub_f32_e32 v4, v72, v71
	v_sub_f32_e32 v6, v73, v74
	v_add_f32_e32 v85, v0, v67
	v_add_f32_e32 v0, v63, v66
	v_fmac_f32_e32 v84, 0x3f167918, v28
	v_add_f32_e32 v4, v4, v6
	v_fmac_f32_e32 v38, 0xbf167918, v28
	v_fma_f32 v86, -0.5, v0, v34
	v_sub_f32_e32 v0, v54, v57
	v_fmac_f32_e32 v84, 0x3e9e377a, v4
	v_fmac_f32_e32 v38, 0x3e9e377a, v4
	v_fmamk_f32 v87, v0, 0x3f737871, v86
	v_sub_f32_e32 v4, v55, v56
	v_sub_f32_e32 v6, v62, v63
	;; [unrolled: 1-line block ×3, first 2 shown]
	v_fmac_f32_e32 v86, 0xbf737871, v0
	v_fmac_f32_e32 v87, 0x3f167918, v4
	v_add_f32_e32 v6, v6, v7
	v_fmac_f32_e32 v86, 0xbf167918, v4
	v_fmac_f32_e32 v87, 0x3e9e377a, v6
	;; [unrolled: 1-line block ×3, first 2 shown]
	v_add_f32_e32 v6, v62, v67
	v_fmac_f32_e32 v34, -0.5, v6
	v_fmamk_f32 v101, v4, 0xbf737871, v34
	v_sub_f32_e32 v6, v63, v62
	v_sub_f32_e32 v7, v66, v67
	v_fmac_f32_e32 v34, 0x3f737871, v4
	v_fmac_f32_e32 v101, 0x3f167918, v0
	v_add_f32_e32 v6, v6, v7
	v_fmac_f32_e32 v34, 0xbf167918, v0
	v_mov_b32_e32 v4, v5
	v_mov_b32_e32 v5, v22
	s_waitcnt vmcnt(0)
	v_mov_b32_e32 v7, v96
	v_mov_b32_e32 v22, v77
	;; [unrolled: 1-line block ×4, first 2 shown]
	v_fmac_f32_e32 v101, 0x3e9e377a, v6
	v_fmac_f32_e32 v34, 0x3e9e377a, v6
	v_mov_b32_e32 v6, v88
	v_pk_mul_f32 v[24:25], v[22:23], v[96:97]
	s_nop 0
	v_pk_fma_f32 v[28:29], v[4:5], v[6:7], v[24:25] neg_lo:[0,0,1] neg_hi:[0,0,1]
	v_pk_mul_f32 v[4:5], v[4:5], v[96:97]
	v_add_f32_e32 v0, v35, v28
	v_pk_fma_f32 v[4:5], v[22:23], v[6:7], v[4:5]
	v_mov_b32_e32 v7, v98
	v_mov_b32_e32 v98, v91
	;; [unrolled: 1-line block ×3, first 2 shown]
	v_pk_mul_f32 v[22:23], v[102:103], v[98:99]
	v_mov_b32_e32 v24, v28
	v_pk_fma_f32 v[42:43], v[20:21], v[6:7], v[22:23] neg_lo:[0,0,1] neg_hi:[0,0,1]
	v_pk_mul_f32 v[20:21], v[20:21], v[98:99]
	v_add_f32_e32 v0, v0, v42
	v_pk_fma_f32 v[6:7], v[102:103], v[6:7], v[20:21]
	v_mov_b32_e32 v21, v92
	v_mov_b32_e32 v92, v49
	;; [unrolled: 1-line block ×3, first 2 shown]
	v_pk_mul_f32 v[22:23], v[104:105], v[92:93]
	v_mov_b32_e32 v26, v42
	v_pk_fma_f32 v[46:47], v[8:9], v[20:21], v[22:23] neg_lo:[0,0,1] neg_hi:[0,0,1]
	v_pk_mul_f32 v[8:9], v[8:9], v[92:93]
	v_mov_b32_e32 v27, v46
	v_pk_fma_f32 v[8:9], v[104:105], v[20:21], v[8:9]
	v_mov_b32_e32 v21, v94
	v_mov_b32_e32 v94, v51
	;; [unrolled: 1-line block ×3, first 2 shown]
	v_pk_mul_f32 v[22:23], v[106:107], v[94:95]
	v_add_f32_e32 v0, v0, v46
	v_pk_fma_f32 v[52:53], v[18:19], v[20:21], v[22:23] neg_lo:[0,0,1] neg_hi:[0,0,1]
	v_pk_mul_f32 v[18:19], v[18:19], v[94:95]
	v_mov_b32_e32 v25, v52
	v_pk_add_f32 v[24:25], v[24:25], v[26:27] neg_lo:[0,1] neg_hi:[0,1]
	v_add_f32_e32 v88, v0, v52
	v_mov_b32_e32 v0, v25
	v_pk_fma_f32 v[40:41], v[106:107], v[20:21], v[18:19]
	v_pk_add_f32 v[18:19], v[42:43], v[46:47]
	v_pk_add_f32 v[20:21], v[6:7], v[8:9] neg_lo:[0,1] neg_hi:[0,1]
	v_pk_add_f32 v[24:25], v[24:25], v[0:1]
	v_fma_f32 v15, -0.5, v18, v35
	v_pk_add_f32 v[22:23], v[4:5], v[40:41] neg_lo:[0,1] neg_hi:[0,1]
	v_mov_b32_e32 v25, v20
	v_fmamk_f32 v18, v22, 0x3f737871, v15
	v_pk_mul_f32 v[24:25], v[24:25], s[0:1]
	v_fmac_f32_e32 v15, 0xbf737871, v22
	v_add_f32_e32 v0, v25, v18
	v_add_f32_e32 v89, v24, v0
	v_sub_f32_e32 v0, v15, v25
	v_add_f32_e32 v18, v24, v0
	v_pk_add_f32 v[24:25], v[28:29], v[52:53]
	v_sub_f32_e32 v0, v46, v52
	v_fmac_f32_e32 v35, -0.5, v24
	v_fmamk_f32 v90, v20, 0xbf737871, v35
	v_sub_f32_e32 v15, v42, v28
	v_fmac_f32_e32 v35, 0x3f737871, v20
	v_fmac_f32_e32 v90, 0x3f167918, v22
	v_add_f32_e32 v0, v15, v0
	v_fmac_f32_e32 v35, 0xbf167918, v22
	v_mov_b32_e32 v26, v29
	v_mov_b32_e32 v27, v53
	;; [unrolled: 1-line block ×4, first 2 shown]
	v_fmac_f32_e32 v90, 0x3e9e377a, v0
	v_fmac_f32_e32 v35, 0x3e9e377a, v0
	v_add_f32_e32 v0, v1, v29
	v_pk_add_f32 v[44:45], v[26:27], v[36:37] neg_lo:[0,1] neg_hi:[0,1]
	v_add_f32_e32 v24, v0, v43
	v_add_f32_e32 v0, v44, v45
	v_mul_f32_e32 v49, 0.5, v19
	v_mul_f32_e32 v22, 0x3e9e377a, v0
	v_mov_b32_e32 v0, v7
	v_mov_b32_e32 v48, v9
	v_pk_add_f32 v[44:45], v[0:1], v[48:49] neg_lo:[0,1] neg_hi:[0,1]
	v_mul_f32_e32 v21, 0x3f737871, v23
	v_mov_b32_e32 v20, 0x3f167918
	v_pk_mul_f32 v[76:77], v[44:45], s[2:3]
	v_fmamk_f32 v50, v23, 0x3f737871, v45
	v_pk_add_f32 v[80:81], v[44:45], v[20:21] neg_lo:[0,1] neg_hi:[0,1]
	v_mov_b32_e32 v51, v76
	v_pk_fma_f32 v[20:21], v[44:45], v[20:21], v[50:51]
	v_pk_add_f32 v[50:51], v[80:81], v[50:51] neg_lo:[0,1] neg_hi:[0,1]
	v_pk_add_f32 v[26:27], v[36:37], v[26:27] neg_lo:[0,1] neg_hi:[0,1]
	v_mov_b32_e32 v21, v51
	v_pk_add_f32 v[20:21], v[22:23], v[20:21] op_sel_hi:[0,1]
	v_mov_b32_e32 v22, v27
	v_pk_add_f32 v[26:27], v[26:27], v[22:23]
	v_fmac_f32_e32 v1, -0.5, v25
	v_mov_b32_e32 v27, v23
	v_fmamk_f32 v25, v44, 0xbf737871, v1
	v_pk_mul_f32 v[26:27], v[26:27], s[0:1]
	v_fmac_f32_e32 v1, 0x3f737871, v44
	v_sub_f32_e32 v1, v1, v27
	v_add_f32_e32 v15, v26, v1
	v_mov_b32_e32 v1, 0x2d0
	v_cmp_lt_u32_e64 s[0:1], 35, v78
	v_mov_b32_e32 v22, v47
	v_mov_b32_e32 v23, v27
	v_cndmask_b32_e64 v1, 0, v1, s[0:1]
	v_add3_u32 v10, 0, v1, v10
	v_mul_u32_u24_e32 v1, 0x2d0, v75
	v_add3_u32 v75, 0, v1, v110
	v_mul_u32_u24_e32 v1, 0x2d0, v108
	v_pk_add_f32 v[22:23], v[24:25], v[22:23]
	v_mov_b32_e32 v24, v53
	v_mov_b32_e32 v25, v26
	v_add3_u32 v76, 0, v1, v111
	v_mul_u32_u24_e32 v1, 0x2d0, v109
	v_pk_add_f32 v[22:23], v[22:23], v[24:25]
	v_add3_u32 v77, 0, v1, v112
	v_add_u32_e32 v1, 0x200, v68
	ds_write2_b32 v10, v83, v82 offset1:36
	ds_write2_b32 v10, v84, v38 offset0:72 offset1:108
	ds_write_b32 v10, v39 offset:576
	ds_write2_b32 v75, v85, v87 offset1:36
	ds_write2_b32 v75, v101, v34 offset0:72 offset1:108
	ds_write_b32 v75, v86 offset:576
	;; [unrolled: 3-line block ×4, first 2 shown]
	s_waitcnt lgkmcnt(0)
	; wave barrier
	s_waitcnt lgkmcnt(0)
	ds_read2_b32 v[50:51], v68 offset1:180
	ds_read2_b32 v[34:35], v1 offset0:115 offset1:232
	ds_read2_b32 v[38:39], v31 offset0:39 offset1:156
	;; [unrolled: 1-line block ×5, first 2 shown]
	ds_read_b32 v30, v70
	ds_read_b32 v19, v68 offset:4572
	v_cmp_gt_u32_e64 s[0:1], 54, v78
	v_cmp_lt_u32_e64 s[2:3], 53, v78
                                        ; implicit-def: $vgpr24_vgpr25
                                        ; implicit-def: $vgpr26_vgpr27
	s_and_saveexec_b64 s[6:7], s[2:3]
	s_xor_b64 s[6:7], exec, s[6:7]
; %bb.32:
	v_mov_b64_e32 v[24:25], v[14:15]
	v_mov_b64_e32 v[26:27], v[22:23]
; %bb.33:
	s_andn2_saveexec_b64 s[6:7], s[6:7]
	s_cbranch_execz .LBB0_35
; %bb.34:
	v_add_u32_e32 v1, 0x400, v68
	ds_read2_b32 v[22:23], v1 offset0:50 offset1:230
	v_add_u32_e32 v1, 0xa00, v68
	ds_read2_b32 v[24:25], v1 offset0:26 offset1:206
	;; [unrolled: 2-line block ×3, first 2 shown]
	ds_read_b32 v18, v69
	s_waitcnt lgkmcnt(3)
	v_mov_b32_e32 v26, v22
	v_mov_b32_e32 v20, v23
	s_waitcnt lgkmcnt(2)
	v_mov_b32_e32 v27, v24
	s_waitcnt lgkmcnt(1)
	v_mov_b32_e32 v24, v15
	v_mov_b32_e32 v21, v14
	;; [unrolled: 1-line block ×3, first 2 shown]
.LBB0_35:
	s_or_b64 exec, exec, s[6:7]
	v_add_f32_e32 v1, v17, v58
	v_add_f32_e32 v1, v1, v59
	;; [unrolled: 1-line block ×5, first 2 shown]
	v_fma_f32 v23, -0.5, v1, v17
	v_sub_f32_e32 v1, v71, v74
	v_fmamk_f32 v31, v1, 0xbf737871, v23
	v_sub_f32_e32 v49, v72, v73
	v_sub_f32_e32 v71, v58, v59
	;; [unrolled: 1-line block ×3, first 2 shown]
	v_fmac_f32_e32 v23, 0x3f737871, v1
	v_fmac_f32_e32 v31, 0xbf167918, v49
	v_add_f32_e32 v71, v71, v72
	v_fmac_f32_e32 v23, 0x3f167918, v49
	v_fmac_f32_e32 v31, 0x3e9e377a, v71
	;; [unrolled: 1-line block ×3, first 2 shown]
	v_add_f32_e32 v71, v58, v61
	v_fmac_f32_e32 v17, -0.5, v71
	v_fmamk_f32 v71, v49, 0x3f737871, v17
	v_fmac_f32_e32 v17, 0xbf737871, v49
	v_fmac_f32_e32 v71, 0xbf167918, v1
	;; [unrolled: 1-line block ×3, first 2 shown]
	v_add_f32_e32 v1, v11, v54
	v_add_f32_e32 v1, v1, v55
	;; [unrolled: 1-line block ×3, first 2 shown]
	v_sub_f32_e32 v58, v59, v58
	v_sub_f32_e32 v59, v60, v61
	v_add_f32_e32 v72, v1, v57
	v_add_f32_e32 v1, v55, v56
	;; [unrolled: 1-line block ×3, first 2 shown]
	v_fma_f32 v73, -0.5, v1, v11
	v_sub_f32_e32 v1, v62, v67
	v_fmac_f32_e32 v71, 0x3e9e377a, v58
	v_fmac_f32_e32 v17, 0x3e9e377a, v58
	v_fmamk_f32 v67, v1, 0xbf737871, v73
	v_sub_f32_e32 v49, v63, v66
	v_sub_f32_e32 v58, v54, v55
	;; [unrolled: 1-line block ×3, first 2 shown]
	v_fmac_f32_e32 v73, 0x3f737871, v1
	v_fmac_f32_e32 v67, 0xbf167918, v49
	v_add_f32_e32 v58, v58, v59
	v_fmac_f32_e32 v73, 0x3f167918, v49
	v_fmac_f32_e32 v67, 0x3e9e377a, v58
	;; [unrolled: 1-line block ×3, first 2 shown]
	v_add_f32_e32 v58, v54, v57
	v_fmac_f32_e32 v11, -0.5, v58
	v_fmamk_f32 v66, v49, 0x3f737871, v11
	v_sub_f32_e32 v54, v55, v54
	v_sub_f32_e32 v55, v56, v57
	v_fmac_f32_e32 v11, 0xbf737871, v49
	v_fmac_f32_e32 v66, 0xbf167918, v1
	v_add_f32_e32 v54, v54, v55
	v_fmac_f32_e32 v11, 0x3f167918, v1
	v_fmac_f32_e32 v66, 0x3e9e377a, v54
	;; [unrolled: 1-line block ×3, first 2 shown]
	v_add_f32_e32 v1, v2, v4
	v_pk_add_f32 v[54:55], v[6:7], v[8:9]
	s_mov_b32 s10, 0x3f737871
	v_add_f32_e32 v1, v1, v6
	v_pk_fma_f32 v[54:55], -0.5, v[54:55], v[2:3] op_sel_hi:[0,1,1]
	v_pk_add_f32 v[52:53], v[28:29], v[52:53] neg_lo:[0,1] neg_hi:[0,1]
	v_pk_add_f32 v[62:63], v[4:5], v[40:41]
	s_mov_b32 s12, 0x3f167918
	v_add_f32_e32 v1, v1, v8
	v_pk_fma_f32 v[28:29], v[52:53], s[10:11], v[54:55] op_sel_hi:[1,0,1] neg_lo:[1,0,0] neg_hi:[1,0,0]
	v_pk_add_f32 v[42:43], v[42:43], v[46:47] neg_lo:[0,1] neg_hi:[0,1]
	v_pk_fma_f32 v[54:55], v[52:53], s[10:11], v[54:55] op_sel_hi:[1,0,1]
	v_fmac_f32_e32 v2, -0.5, v62
	v_add_f32_e32 v74, v1, v40
	v_pk_add_f32 v[56:57], v[4:5], v[6:7] neg_lo:[0,1] neg_hi:[0,1]
	v_pk_add_f32 v[58:59], v[40:41], v[8:9] neg_lo:[0,1] neg_hi:[0,1]
	v_pk_fma_f32 v[60:61], v[42:43], s[12:13], v[54:55] op_sel_hi:[1,0,1]
	v_fmamk_f32 v54, v42, 0x3f737871, v2
	v_sub_f32_e32 v1, v8, v40
	v_sub_f32_e32 v4, v6, v4
	v_fmac_f32_e32 v2, 0xbf737871, v42
	s_mov_b32 s6, 0x3e9e377a
	v_pk_mul_f32 v[46:47], v[42:43], s[12:13] op_sel_hi:[1,0]
	v_pk_add_f32 v[56:57], v[56:57], v[58:59]
	v_fmac_f32_e32 v54, 0xbf167918, v52
	v_add_f32_e32 v1, v4, v1
	v_fmac_f32_e32 v2, 0x3f167918, v52
	v_pk_mul_f32 v[58:59], v[56:57], s[6:7] op_sel_hi:[1,0]
	v_fmac_f32_e32 v54, 0x3e9e377a, v1
	v_fmac_f32_e32 v2, 0x3e9e377a, v1
	v_add_f32_e32 v46, v3, v5
	v_add_f32_e32 v1, v47, v55
	v_fmac_f32_e32 v3, -0.5, v63
	v_pk_fma_f32 v[28:29], v[42:43], s[12:13], v[28:29] op_sel_hi:[1,0,1] neg_lo:[1,0,0] neg_hi:[1,0,0]
	v_add_f32_e32 v42, v59, v1
	v_mul_f32_e32 v47, 0x3f737871, v43
	v_mov_b32_e32 v1, v3
	v_mul_f32_e32 v49, 0x3f167918, v53
	v_pk_add_f32 v[0:1], v[46:47], v[0:1]
	v_mov_b32_e32 v8, v7
	v_pk_add_f32 v[46:47], v[0:1], v[48:49]
	v_pk_add_f32 v[0:1], v[0:1], v[48:49] neg_lo:[0,1] neg_hi:[0,1]
	v_mov_b32_e32 v40, v5
	v_mov_b32_e32 v47, v1
	v_pk_add_f32 v[0:1], v[8:9], v[40:41] neg_lo:[0,1] neg_hi:[0,1]
	v_fmac_f32_e32 v3, 0xbf737871, v43
	v_add_f32_e32 v4, v0, v1
	v_mul_f32_e32 v1, 0x3e9e377a, v4
	v_mov_b32_e32 v0, v41
	v_mov_b32_e32 v61, v29
	v_pk_add_f32 v[40:41], v[46:47], v[0:1]
	v_fmac_f32_e32 v3, 0x3f167918, v53
	v_add_u32_e32 v0, 0x200, v68
	v_add_f32_e32 v58, v58, v28
	v_pk_fma_f32 v[28:29], v[56:57], s[6:7], v[60:61] op_sel_hi:[1,0,1]
	v_fmac_f32_e32 v3, 0x3e9e377a, v4
	s_waitcnt lgkmcnt(0)
	; wave barrier
	s_waitcnt lgkmcnt(0)
	ds_write2_b32 v10, v15, v31 offset1:36
	ds_write2_b32 v10, v71, v17 offset0:72 offset1:108
	ds_write_b32 v10, v23 offset:576
	ds_write2_b32 v75, v72, v67 offset1:36
	ds_write2_b32 v75, v66, v11 offset0:72 offset1:108
	ds_write_b32 v75, v73 offset:576
	;; [unrolled: 3-line block ×4, first 2 shown]
	s_waitcnt lgkmcnt(0)
	; wave barrier
	s_waitcnt lgkmcnt(0)
	ds_read2_b32 v[54:55], v0 offset0:115 offset1:232
	v_add_u32_e32 v0, 0x600, v68
	ds_read2_b32 v[60:61], v0 offset0:39 offset1:156
	v_add_u32_e32 v0, 0x800, v68
	;; [unrolled: 2-line block ×4, first 2 shown]
	ds_read2_b32 v[66:67], v68 offset1:180
	ds_read2_b32 v[62:63], v0 offset0:67 offset1:184
	ds_read_b32 v31, v70
	ds_read_b32 v15, v68 offset:4572
                                        ; implicit-def: $vgpr46_vgpr47
                                        ; implicit-def: $vgpr48_vgpr49
	s_and_saveexec_b64 s[6:7], s[2:3]
	s_xor_b64 s[2:3], exec, s[6:7]
	s_cbranch_execnz .LBB0_39
; %bb.36:
	s_andn2_saveexec_b64 s[2:3], s[2:3]
	s_cbranch_execnz .LBB0_40
.LBB0_37:
	s_or_b64 exec, exec, s[2:3]
	s_and_saveexec_b64 s[2:3], vcc
	s_cbranch_execnz .LBB0_41
.LBB0_38:
	s_endpgm
.LBB0_39:
	v_mov_b32_e32 v17, v3
	v_mov_b64_e32 v[46:47], v[16:17]
	v_mov_b64_e32 v[48:49], v[40:41]
                                        ; implicit-def: $vgpr69
                                        ; implicit-def: $vgpr68
	s_andn2_saveexec_b64 s[2:3], s[2:3]
	s_cbranch_execz .LBB0_37
.LBB0_40:
	v_add_u32_e32 v0, 0x400, v68
	ds_read2_b32 v[40:41], v0 offset0:50 offset1:230
	v_add_u32_e32 v0, 0xa00, v68
	ds_read2_b32 v[46:47], v0 offset0:26 offset1:206
	;; [unrolled: 2-line block ×3, first 2 shown]
	ds_read_b32 v28, v69
	s_waitcnt lgkmcnt(3)
	v_mov_b32_e32 v48, v40
	v_mov_b32_e32 v29, v41
	s_waitcnt lgkmcnt(2)
	v_mov_b32_e32 v49, v46
	s_waitcnt lgkmcnt(1)
	v_mov_b32_e32 v46, v43
	v_mov_b32_e32 v16, v43
	s_or_b64 exec, exec, s[2:3]
	s_and_saveexec_b64 s[2:3], vcc
	s_cbranch_execz .LBB0_38
.LBB0_41:
	v_mul_i32_i24_e32 v52, 6, v64
	v_mov_b32_e32 v53, 0
	v_mul_u32_u24_e32 v8, 6, v78
	v_lshl_add_u64 v[68:69], v[52:53], 3, s[4:5]
	v_lshlrev_b32_e32 v17, 3, v8
	global_load_dwordx4 v[0:3], v[68:69], off offset:1424
	global_load_dwordx4 v[4:7], v[68:69], off offset:1456
	global_load_dwordx4 v[80:83], v17, s[4:5] offset:1424
	global_load_dwordx4 v[84:87], v17, s[4:5] offset:1456
	global_load_dwordx4 v[8:11], v[68:69], off offset:1440
	global_load_dwordx4 v[88:91], v17, s[4:5] offset:1440
	v_add_u32_e32 v105, 0x438, v78
	v_mad_u64_u32 v[68:69], s[2:3], s8, v78, 0
	v_add_u32_e32 v17, 0xb4, v78
	v_add_u32_e32 v23, 0x168, v78
	v_mad_u64_u32 v[94:95], s[2:3], s8, v105, 0
	v_add_u32_e32 v43, 0x2d0, v78
	v_mov_b32_e32 v52, v69
	v_mad_u64_u32 v[70:71], s[2:3], s8, v17, 0
	v_mad_u64_u32 v[72:73], s[2:3], s8, v23, 0
	v_mov_b32_e32 v104, v95
	v_mad_u64_u32 v[76:77], s[2:3], s8, v43, 0
	v_mad_u64_u32 v[96:97], s[2:3], s9, v78, v[52:53]
	v_mov_b32_e32 v52, v71
	v_mov_b32_e32 v64, v73
	v_mad_u64_u32 v[104:105], s[2:3], s9, v105, v[104:105]
	s_waitcnt lgkmcnt(4)
	v_mov_b32_e32 v122, v57
	v_mov_b32_e32 v123, v61
	v_add_u32_e32 v41, 0x21c, v78
	v_mov_b32_e32 v100, v77
	v_mov_b32_e32 v69, v96
	v_mad_u64_u32 v[96:97], s[2:3], s9, v17, v[52:53]
	v_mad_u64_u32 v[106:107], s[2:3], s9, v23, v[64:65]
	v_mov_b32_e32 v95, v104
	v_mov_b32_e32 v52, v33
	;; [unrolled: 1-line block ×4, first 2 shown]
	v_mad_u64_u32 v[74:75], s[2:3], s8, v41, 0
	v_mad_u64_u32 v[100:101], s[2:3], s9, v43, v[100:101]
	v_mov_b32_e32 v73, v106
	v_mov_b32_e32 v128, v61
	s_waitcnt lgkmcnt(2)
	v_mov_b32_e32 v129, v63
	v_mov_b32_e32 v98, v75
	v_mad_u64_u32 v[98:99], s[2:3], s9, v41, v[98:99]
	v_add_u32_e32 v103, 0x384, v78
	v_mov_b32_e32 v71, v96
	v_mad_u64_u32 v[92:93], s[2:3], s8, v103, 0
	v_lshl_add_u64 v[96:97], v[70:71], 3, v[12:13]
	v_mov_b32_e32 v102, v93
	v_mad_u64_u32 v[102:103], s[2:3], s9, v103, v[102:103]
	s_mov_b32 s2, 0x3f4a47b2
	s_mov_b32 s12, 0x3eae86e6
	s_mov_b32 s3, 0x3d64c772
	s_mov_b32 s13, 0xbf08b237
	s_mov_b32 s6, s3
	s_mov_b32 s7, s2
	s_mov_b32 s20, 0x3f955555
	s_mov_b32 s14, s13
	s_mov_b32 s15, s12
	s_mov_b32 s10, 0x3ee1c552
	v_lshl_add_u64 v[108:109], v[68:69], 3, v[12:13]
	s_mov_b32 s16, 0x3f3bfb3b
	s_mov_b32 s18, 0x3f5ff5aa
	v_mov_b32_e32 v75, v98
	v_mov_b32_e32 v77, v100
	v_lshl_add_u64 v[98:99], v[72:73], 3, v[12:13]
	v_lshl_add_u64 v[100:101], v[74:75], 3, v[12:13]
	v_mov_b32_e32 v93, v102
	v_lshl_add_u64 v[102:103], v[76:77], 3, v[12:13]
	v_lshl_add_u64 v[92:93], v[92:93], 3, v[12:13]
	v_mov_b32_e32 v61, v56
	v_lshl_add_u64 v[94:95], v[94:95], 3, v[12:13]
	s_waitcnt vmcnt(3)
	v_mov_b32_e32 v126, v83
	s_waitcnt vmcnt(2)
	v_mov_b32_e32 v124, v85
	v_mul_f32_e32 v104, v33, v85
	s_waitcnt vmcnt(0)
	v_mov_b32_e32 v125, v88
	v_mov_b32_e32 v120, v84
	;; [unrolled: 1-line block ×3, first 2 shown]
	v_pk_mul_f32 v[122:123], v[122:123], v[124:125]
	v_mov_b32_e32 v124, v55
	v_mov_b32_e32 v125, v59
	;; [unrolled: 1-line block ×3, first 2 shown]
	v_mul_f32_e32 v43, v63, v87
	v_mul_f32_e32 v106, v35, v83
	v_fmac_f32_e32 v104, v57, v84
	v_pk_fma_f32 v[84:85], v[52:53], v[84:85], v[122:123] neg_lo:[0,0,1] neg_hi:[0,0,1]
	v_pk_fma_f32 v[118:119], v[118:119], v[120:121], v[122:123]
	v_mov_b32_e32 v52, v35
	v_mov_b32_e32 v120, v35
	;; [unrolled: 1-line block ×5, first 2 shown]
	v_pk_mul_f32 v[124:125], v[124:125], v[126:127]
	v_mov_b32_e32 v130, v89
	v_mov_b32_e32 v131, v86
	v_fma_f32 v113, v45, v86, -v43
	v_fmac_f32_e32 v106, v55, v82
	v_pk_fma_f32 v[82:83], v[52:53], v[82:83], v[124:125] neg_lo:[0,0,1] neg_hi:[0,0,1]
	v_pk_fma_f32 v[120:121], v[120:121], v[122:123], v[124:125]
	v_mov_b32_e32 v52, v39
	v_mov_b32_e32 v124, v39
	;; [unrolled: 1-line block ×5, first 2 shown]
	v_pk_mul_f32 v[86:87], v[128:129], v[130:131]
	v_mul_f32_e32 v41, v67, v81
	v_pk_fma_f32 v[88:89], v[52:53], v[88:89], v[86:87] neg_lo:[0,0,1] neg_hi:[0,0,1]
	v_pk_fma_f32 v[86:87], v[124:125], v[126:127], v[86:87]
	v_mov_b32_e32 v126, v90
	v_mov_b32_e32 v128, v59
	;; [unrolled: 1-line block ×5, first 2 shown]
	v_fma_f32 v111, v51, v80, -v41
	v_mov_b32_e32 v124, v37
	v_mov_b32_e32 v125, v51
	;; [unrolled: 1-line block ×3, first 2 shown]
	v_pk_mul_f32 v[80:81], v[128:129], v[90:91]
	v_mov_b32_e32 v85, v119
	v_mov_b32_e32 v83, v121
	v_pk_fma_f32 v[90:91], v[124:125], v[126:127], v[80:81] neg_lo:[0,0,1] neg_hi:[0,0,1]
	v_pk_fma_f32 v[80:81], v[124:125], v[126:127], v[80:81]
	v_mul_f32_e32 v17, v54, v1
	v_pk_add_f32 v[122:123], v[82:83], v[84:85] neg_lo:[0,1] neg_hi:[0,1]
	v_mov_b32_e32 v89, v87
	v_mov_b32_e32 v91, v81
	v_mov_b32_e32 v107, v90
	v_mov_b32_e32 v105, v88
	v_fma_f32 v71, v34, v0, -v17
	v_pk_add_f32 v[124:125], v[90:91], v[88:89]
	v_mov_b32_e32 v86, v87
	v_mov_b32_e32 v87, v88
	v_pk_add_f32 v[88:89], v[106:107], v[104:105] neg_lo:[0,1] neg_hi:[0,1]
	v_mov_b32_e32 v52, v81
	v_mov_b32_e32 v17, v122
	v_pk_add_f32 v[80:81], v[52:53], v[86:87] neg_lo:[0,1] neg_hi:[0,1]
	v_pk_add_f32 v[86:87], v[88:89], v[16:17]
	v_mov_b32_e32 v110, v121
	v_mov_b32_e32 v112, v119
	v_add_f32_e32 v115, v106, v104
	v_add_f32_e32 v116, v111, v113
	v_pk_add_f32 v[82:83], v[82:83], v[84:85]
	v_mov_b32_e32 v81, v87
	v_pk_add_f32 v[86:87], v[110:111], v[112:113] neg_lo:[0,1] neg_hi:[0,1]
	v_add_f32_e32 v127, v125, v115
	v_mov_b32_e32 v117, v83
	v_mov_b32_e32 v114, v124
	v_add_f32_e32 v132, v116, v82
	v_mov_b32_e32 v133, v83
	v_mov_b32_e32 v126, v124
	;; [unrolled: 1-line block ×6, first 2 shown]
	v_pk_add_f32 v[84:85], v[116:117], v[114:115] neg_lo:[0,1] neg_hi:[0,1]
	v_pk_add_f32 v[126:127], v[132:133], v[126:127]
	v_mov_b32_e32 v51, v66
	v_pk_add_f32 v[90:91], v[90:91], v[104:105] neg_lo:[0,1] neg_hi:[0,1]
	v_pk_add_f32 v[110:111], v[86:87], v[88:89]
	v_pk_mul_f32 v[84:85], v[84:85], s[2:3]
	v_pk_add_f32 v[128:129], v[124:125], v[82:83] neg_lo:[0,1] neg_hi:[0,1]
	v_pk_add_f32 v[50:51], v[50:51], v[126:127]
	v_pk_mul_f32 v[90:91], v[90:91], s[12:13]
	v_pk_add_f32 v[104:105], v[86:87], v[88:89] neg_lo:[0,1] neg_hi:[0,1]
	v_mov_b32_e32 v111, v87
	v_pk_mul_f32 v[130:131], v[128:129], s[6:7]
	v_pk_fma_f32 v[128:129], v[128:129], s[6:7], v[84:85]
	v_pk_fma_f32 v[66:67], v[126:127], s[20:21], v[50:51] op_sel_hi:[1,0,1] neg_lo:[1,0,0] neg_hi:[1,0,0]
	v_pk_mul_f32 v[106:107], v[104:105], s[14:15]
	v_pk_fma_f32 v[104:105], v[104:105], s[14:15], v[90:91]
	v_pk_add_f32 v[110:111], v[110:111], v[80:81]
	v_pk_add_f32 v[126:127], v[128:129], v[66:67]
	v_pk_fma_f32 v[104:105], v[110:111], s[10:11], v[104:105] op_sel_hi:[1,0,1]
	global_store_dwordx2 v[108:109], v[50:51], off
	v_pk_add_f32 v[112:113], v[126:127], v[104:105] neg_lo:[0,1] neg_hi:[0,1]
	v_pk_add_f32 v[104:105], v[126:127], v[104:105]
	v_mov_b32_e32 v51, v113
	v_mov_b32_e32 v50, v104
	;; [unrolled: 1-line block ×6, first 2 shown]
	global_store_dwordx2 v[96:97], v[50:51], off
	v_mov_b32_e32 v50, v84
	v_mov_b32_e32 v51, v131
	v_pk_add_f32 v[82:83], v[82:83], v[116:117] neg_lo:[0,1] neg_hi:[0,1]
	v_pk_add_f32 v[80:81], v[88:89], v[80:81] neg_lo:[0,1] neg_hi:[0,1]
	v_mov_b32_e32 v86, v90
	v_mov_b32_e32 v87, v107
	v_pk_fma_f32 v[50:51], v[82:83], s[16:17], v[50:51] op_sel_hi:[1,0,1] neg_lo:[1,0,1] neg_hi:[1,0,1]
	v_pk_fma_f32 v[86:87], v[80:81], s[18:19], v[86:87] op_sel_hi:[1,0,1] neg_lo:[1,0,1] neg_hi:[1,0,1]
	v_pk_add_f32 v[50:51], v[50:51], v[66:67]
	v_pk_fma_f32 v[86:87], v[110:111], s[10:11], v[86:87] op_sel_hi:[1,0,1]
	v_mov_b32_e32 v107, v91
	v_mov_b32_e32 v131, v85
	v_pk_add_f32 v[88:89], v[50:51], v[86:87] neg_lo:[0,1] neg_hi:[0,1]
	v_pk_add_f32 v[50:51], v[50:51], v[86:87]
	v_pk_fma_f32 v[80:81], v[80:81], s[18:19], v[106:107] op_sel_hi:[1,0,1] neg_lo:[0,0,1] neg_hi:[0,0,1]
	v_pk_fma_f32 v[82:83], v[82:83], s[16:17], v[130:131] op_sel_hi:[1,0,1] neg_lo:[0,0,1] neg_hi:[0,0,1]
	v_mov_b32_e32 v86, v50
	v_mov_b32_e32 v87, v89
	v_pk_fma_f32 v[80:81], v[110:111], s[10:11], v[80:81] op_sel_hi:[1,0,1]
	v_pk_add_f32 v[66:67], v[82:83], v[66:67]
	v_mov_b32_e32 v89, v51
	v_mad_u64_u32 v[50:51], s[22:23], s8, v65, 0
	v_pk_add_f32 v[82:83], v[66:67], v[80:81]
	v_pk_add_f32 v[66:67], v[66:67], v[80:81] neg_lo:[0,1] neg_hi:[0,1]
	v_mov_b32_e32 v52, v51
	v_mov_b32_e32 v80, v66
	;; [unrolled: 1-line block ×4, first 2 shown]
	v_mad_u64_u32 v[66:67], s[22:23], s9, v65, v[52:53]
	v_add_u32_e32 v17, 0xf3, v78
	v_mov_b32_e32 v51, v66
	v_mad_u64_u32 v[66:67], s[22:23], s8, v17, 0
	v_mov_b32_e32 v52, v67
	global_store_dwordx2 v[98:99], v[86:87], off
	global_store_dwordx2 v[100:101], v[80:81], off
	v_mad_u64_u32 v[80:81], s[22:23], s9, v17, v[52:53]
	v_add_u32_e32 v17, 0x1a7, v78
	v_mov_b32_e32 v67, v80
	v_mad_u64_u32 v[80:81], s[22:23], s8, v17, 0
	v_mov_b32_e32 v52, v81
	global_store_dwordx2 v[102:103], v[82:83], off
	v_mad_u64_u32 v[82:83], s[22:23], s9, v17, v[52:53]
	v_add_u32_e32 v17, 0x25b, v78
	v_mov_b32_e32 v81, v82
	v_mad_u64_u32 v[82:83], s[22:23], s8, v17, 0
	v_mov_b32_e32 v52, v83
	v_mad_u64_u32 v[84:85], s[22:23], s9, v17, v[52:53]
	v_add_u32_e32 v17, 0x30f, v78
	v_mov_b32_e32 v83, v84
	v_mad_u64_u32 v[84:85], s[22:23], s8, v17, 0
	v_mov_b32_e32 v52, v85
	;; [unrolled: 5-line block ×3, first 2 shown]
	global_store_dwordx2 v[92:93], v[88:89], off
	v_mad_u64_u32 v[88:89], s[22:23], s9, v17, v[52:53]
	v_add_u32_e32 v17, 0x477, v78
	v_mov_b32_e32 v87, v88
	v_mad_u64_u32 v[88:89], s[22:23], s8, v17, 0
	v_mov_b32_e32 v52, v89
	v_mul_f32_e32 v74, v44, v5
	v_mad_u64_u32 v[90:91], s[22:23], s9, v17, v[52:53]
	v_mov_b32_e32 v63, v58
	v_mov_b32_e32 v92, v5
	v_mov_b32_e32 v93, v8
	v_fmac_f32_e32 v74, v62, v4
	v_mov_b32_e32 v89, v90
	v_mov_b32_e32 v45, v36
	;; [unrolled: 1-line block ×4, first 2 shown]
	v_pk_mul_f32 v[62:63], v[62:63], v[92:93]
	v_mul_f32_e32 v76, v38, v3
	v_pk_fma_f32 v[4:5], v[44:45], v[4:5], v[62:63] neg_lo:[0,0,1] neg_hi:[0,0,1]
	v_pk_fma_f32 v[44:45], v[44:45], v[90:91], v[62:63]
	v_mov_b32_e32 v90, v3
	v_mov_b32_e32 v91, v10
	s_waitcnt lgkmcnt(0)
	v_mul_f32_e32 v23, v15, v7
	v_fmac_f32_e32 v76, v60, v2
	v_mov_b32_e32 v39, v32
	v_mov_b32_e32 v62, v2
	;; [unrolled: 1-line block ×3, first 2 shown]
	v_pk_mul_f32 v[60:61], v[60:61], v[90:91]
	v_mov_b32_e32 v59, v15
	v_mov_b32_e32 v90, v9
	;; [unrolled: 1-line block ×8, first 2 shown]
	v_fma_f32 v73, v19, v6, -v23
	v_pk_fma_f32 v[2:3], v[38:39], v[2:3], v[60:61] neg_lo:[0,0,1] neg_hi:[0,0,1]
	v_pk_fma_f32 v[38:39], v[38:39], v[62:63], v[60:61]
	v_mov_b32_e32 v37, v19
	v_mov_b32_e32 v62, v8
	;; [unrolled: 1-line block ×3, first 2 shown]
	v_pk_mul_f32 v[6:7], v[58:59], v[90:91]
	v_mov_b32_e32 v35, v1
	v_pk_mul_f32 v[0:1], v[56:57], v[10:11]
	v_mov_b32_e32 v5, v45
	v_mov_b32_e32 v3, v39
	v_pk_fma_f32 v[8:9], v[36:37], v[8:9], v[6:7] neg_lo:[0,0,1] neg_hi:[0,0,1]
	v_pk_fma_f32 v[6:7], v[36:37], v[62:63], v[6:7]
	v_pk_fma_f32 v[10:11], v[32:33], v[34:35], v[0:1] neg_lo:[0,0,1] neg_hi:[0,0,1]
	v_pk_fma_f32 v[0:1], v[32:33], v[34:35], v[0:1]
	v_pk_add_f32 v[60:61], v[2:3], v[4:5] neg_lo:[0,1] neg_hi:[0,1]
	v_mov_b32_e32 v9, v7
	v_mov_b32_e32 v11, v1
	;; [unrolled: 1-line block ×4, first 2 shown]
	v_pk_add_f32 v[32:33], v[10:11], v[8:9]
	v_mov_b32_e32 v6, v7
	v_mov_b32_e32 v7, v8
	v_pk_add_f32 v[8:9], v[76:77], v[74:75] neg_lo:[0,1] neg_hi:[0,1]
	v_mov_b32_e32 v0, v1
	v_mov_b32_e32 v1, v60
	v_pk_add_f32 v[6:7], v[0:1], v[6:7] neg_lo:[0,1] neg_hi:[0,1]
	v_pk_add_f32 v[0:1], v[8:9], v[0:1]
	v_mov_b32_e32 v70, v39
	v_mov_b32_e32 v72, v45
	v_add_f32_e32 v69, v76, v74
	v_add_f32_e32 v64, v71, v73
	v_pk_add_f32 v[2:3], v[2:3], v[4:5]
	v_mov_b32_e32 v7, v1
	v_pk_add_f32 v[0:1], v[70:71], v[72:73] neg_lo:[0,1] neg_hi:[0,1]
	v_add_f32_e32 v35, v33, v69
	v_mov_b32_e32 v65, v3
	v_mov_b32_e32 v68, v32
	v_add_f32_e32 v56, v64, v2
	v_mov_b32_e32 v57, v3
	v_mov_b32_e32 v34, v32
	;; [unrolled: 1-line block ×6, first 2 shown]
	v_pk_add_f32 v[4:5], v[64:65], v[68:69] neg_lo:[0,1] neg_hi:[0,1]
	v_pk_add_f32 v[34:35], v[56:57], v[34:35]
	v_pk_add_f32 v[10:11], v[10:11], v[38:39] neg_lo:[0,1] neg_hi:[0,1]
	v_pk_add_f32 v[56:57], v[0:1], v[8:9]
	v_pk_mul_f32 v[4:5], v[4:5], s[2:3]
	v_pk_add_f32 v[36:37], v[32:33], v[2:3] neg_lo:[0,1] neg_hi:[0,1]
	v_pk_add_f32 v[30:31], v[30:31], v[34:35]
	v_pk_mul_f32 v[10:11], v[10:11], s[12:13]
	v_pk_add_f32 v[38:39], v[0:1], v[8:9] neg_lo:[0,1] neg_hi:[0,1]
	v_mov_b32_e32 v57, v1
	v_pk_mul_f32 v[54:55], v[36:37], s[6:7]
	v_pk_fma_f32 v[36:37], v[36:37], s[6:7], v[4:5]
	v_pk_fma_f32 v[34:35], v[34:35], s[20:21], v[30:31] op_sel_hi:[1,0,1] neg_lo:[1,0,0] neg_hi:[1,0,0]
	v_pk_mul_f32 v[44:45], v[38:39], s[14:15]
	v_pk_fma_f32 v[38:39], v[38:39], s[14:15], v[10:11]
	v_pk_add_f32 v[56:57], v[56:57], v[6:7]
	v_pk_add_f32 v[36:37], v[36:37], v[34:35]
	v_pk_fma_f32 v[38:39], v[56:57], s[10:11], v[38:39] op_sel_hi:[1,0,1]
	v_mov_b32_e32 v113, v105
	v_lshl_add_u64 v[50:51], v[50:51], 3, v[12:13]
	v_pk_add_f32 v[58:59], v[36:37], v[38:39] neg_lo:[0,1] neg_hi:[0,1]
	v_pk_add_f32 v[36:37], v[36:37], v[38:39]
	global_store_dwordx2 v[94:95], v[112:113], off
	v_lshl_add_u64 v[66:67], v[66:67], 3, v[12:13]
	global_store_dwordx2 v[50:51], v[30:31], off
	v_mov_b32_e32 v30, v36
	v_mov_b32_e32 v31, v59
	;; [unrolled: 1-line block ×6, first 2 shown]
	global_store_dwordx2 v[66:67], v[30:31], off
	v_mov_b32_e32 v30, v4
	v_mov_b32_e32 v31, v55
	v_pk_add_f32 v[2:3], v[2:3], v[64:65] neg_lo:[0,1] neg_hi:[0,1]
	v_pk_add_f32 v[0:1], v[8:9], v[6:7] neg_lo:[0,1] neg_hi:[0,1]
	v_mov_b32_e32 v6, v10
	v_mov_b32_e32 v7, v45
	;; [unrolled: 1-line block ×4, first 2 shown]
	v_pk_fma_f32 v[30:31], v[2:3], s[16:17], v[30:31] op_sel_hi:[1,0,1] neg_lo:[1,0,1] neg_hi:[1,0,1]
	v_pk_fma_f32 v[6:7], v[0:1], s[18:19], v[6:7] op_sel_hi:[1,0,1] neg_lo:[1,0,1] neg_hi:[1,0,1]
	;; [unrolled: 1-line block ×4, first 2 shown]
	v_pk_add_f32 v[30:31], v[30:31], v[34:35]
	v_pk_fma_f32 v[6:7], v[56:57], s[10:11], v[6:7] op_sel_hi:[1,0,1]
	v_pk_fma_f32 v[0:1], v[56:57], s[10:11], v[0:1] op_sel_hi:[1,0,1]
	v_pk_add_f32 v[2:3], v[2:3], v[34:35]
	v_pk_add_f32 v[8:9], v[30:31], v[6:7] neg_lo:[0,1] neg_hi:[0,1]
	v_pk_add_f32 v[6:7], v[30:31], v[6:7]
	v_pk_add_f32 v[4:5], v[2:3], v[0:1]
	v_pk_add_f32 v[0:1], v[2:3], v[0:1] neg_lo:[0,1] neg_hi:[0,1]
	v_lshl_add_u64 v[80:81], v[80:81], 3, v[12:13]
	v_lshl_add_u64 v[82:83], v[82:83], 3, v[12:13]
	;; [unrolled: 1-line block ×5, first 2 shown]
	v_mov_b32_e32 v30, v6
	v_mov_b32_e32 v31, v9
	;; [unrolled: 1-line block ×7, first 2 shown]
	global_store_dwordx2 v[80:81], v[30:31], off
	global_store_dwordx2 v[82:83], v[2:3], off
	;; [unrolled: 1-line block ×5, first 2 shown]
	s_and_b64 exec, exec, s[0:1]
	s_cbranch_execz .LBB0_38
; %bb.42:
	v_subrev_u32_e32 v0, 54, v78
	v_cndmask_b32_e64 v0, v0, v79, s[0:1]
	v_mul_i32_i24_e32 v52, 6, v0
	v_lshl_add_u64 v[30:31], v[52:53], 3, s[4:5]
	global_load_dwordx4 v[0:3], v[30:31], off offset:1424
	global_load_dwordx4 v[4:7], v[30:31], off offset:1440
	;; [unrolled: 1-line block ×3, first 2 shown]
	v_mov_b32_e32 v30, v20
	v_mov_b32_e32 v31, v27
	v_mov_b32_e32 v36, v29
	v_mov_b32_e32 v37, v42
	v_mov_b32_e32 v32, v49
	v_mov_b32_e32 v34, v49
	v_mov_b32_e32 v35, v29
	v_mov_b32_e32 v38, v47
	v_mov_b32_e32 v39, v42
	v_mov_b32_e32 v42, v25
	v_mov_b32_e32 v19, v28
	s_mov_b32 s0, 0xbf955555
	s_waitcnt vmcnt(2)
	v_mul_f32_e32 v22, v22, v1
	v_mov_b32_e32 v44, v3
	s_waitcnt vmcnt(0)
	v_mul_f32_e32 v14, v14, v11
	v_mov_b32_e32 v45, v4
	v_mov_b32_e32 v52, v5
	;; [unrolled: 1-line block ×8, first 2 shown]
	v_fmac_f32_e32 v22, v40, v0
	v_fmac_f32_e32 v14, v16, v10
	v_mov_b32_e32 v50, v7
	v_mov_b32_e32 v51, v8
	;; [unrolled: 1-line block ×7, first 2 shown]
	v_pk_mul_f32 v[10:11], v[30:31], v[44:45]
	v_pk_mul_f32 v[16:17], v[48:49], v[56:57]
	;; [unrolled: 1-line block ×3, first 2 shown]
	v_add_f32_e32 v33, v22, v14
	v_mov_b32_e32 v8, v6
	v_mov_b32_e32 v59, v7
	v_pk_mul_f32 v[30:31], v[38:39], v[50:51]
	v_pk_mul_f32 v[36:37], v[46:47], v[60:61]
	v_pk_fma_f32 v[38:39], v[32:33], v[52:53], v[10:11] op_sel:[0,0,1] op_sel_hi:[1,1,0] neg_lo:[1,0,0] neg_hi:[1,0,0]
	v_pk_fma_f32 v[10:11], v[34:35], v[54:55], v[10:11] op_sel:[0,0,1] op_sel_hi:[1,1,0]
	v_pk_fma_f32 v[34:35], v[26:27], v[0:1], v[16:17] neg_lo:[0,0,1] neg_hi:[0,0,1]
	v_pk_fma_f32 v[0:1], v[26:27], v[0:1], v[16:17]
	v_pk_fma_f32 v[2:3], v[20:21], v[2:3], v[4:5] neg_lo:[0,0,1] neg_hi:[0,0,1]
	v_mov_b32_e32 v20, v25
	v_pk_fma_f32 v[4:5], v[42:43], v[6:7], v[30:31] neg_lo:[0,0,1] neg_hi:[0,0,1]
	v_pk_fma_f32 v[6:7], v[24:25], v[58:59], v[36:37] neg_lo:[0,0,1] neg_hi:[0,0,1]
	v_pk_fma_f32 v[16:17], v[24:25], v[58:59], v[36:37]
	v_pk_fma_f32 v[8:9], v[20:21], v[8:9], v[30:31]
	v_mov_b32_e32 v0, v3
	v_mov_b32_e32 v39, v11
	v_mov_b32_e32 v35, v1
	v_mov_b32_e32 v7, v17
	v_mov_b32_e32 v23, v34
	v_mov_b32_e32 v15, v6
	v_mov_b32_e32 v10, v11
	v_mov_b32_e32 v11, v2
	v_mov_b32_e32 v16, v17
	v_mov_b32_e32 v17, v4
	v_mov_b32_e32 v20, v1
	v_mov_b32_e32 v21, v38
	v_mov_b32_e32 v5, v9
	v_pk_add_f32 v[0:1], v[2:3], v[0:1]
	v_mov_b32_e32 v2, v9
	v_pk_add_f32 v[14:15], v[22:23], v[14:15] neg_lo:[0,1] neg_hi:[0,1]
	v_pk_add_f32 v[6:7], v[34:35], v[6:7]
	v_pk_add_f32 v[8:9], v[16:17], v[20:21] neg_lo:[0,1] neg_hi:[0,1]
	v_pk_add_f32 v[2:3], v[10:11], v[2:3] neg_lo:[0,1] neg_hi:[0,1]
	v_pk_add_f32 v[4:5], v[38:39], v[4:5]
	v_pk_add_f32 v[10:11], v[0:1], v[6:7]
	v_mov_b32_e32 v1, v7
	v_mov_b32_e32 v16, v8
	;; [unrolled: 1-line block ×7, first 2 shown]
	v_pk_add_f32 v[30:31], v[8:9], v[2:3]
	v_mov_b32_e32 v20, v2
	v_mov_b32_e32 v9, v3
	v_add_f32_e32 v25, v5, v33
	v_pk_add_f32 v[26:27], v[6:7], v[4:5] neg_lo:[0,1] neg_hi:[0,1]
	v_mov_b32_e32 v11, v7
	v_pk_add_f32 v[34:35], v[32:33], v[0:1] neg_lo:[0,1] neg_hi:[0,1]
	v_pk_add_f32 v[16:17], v[16:17], v[20:21] neg_lo:[0,1] neg_hi:[0,1]
	;; [unrolled: 1-line block ×3, first 2 shown]
	v_mov_b32_e32 v24, v4
	v_pk_add_f32 v[10:11], v[10:11], v[24:25]
	v_pk_mul_f32 v[22:23], v[34:35], s[6:7]
	v_pk_mul_f32 v[24:25], v[26:27], s[2:3]
	;; [unrolled: 1-line block ×4, first 2 shown]
	v_mov_b32_e32 v1, v5
	v_mov_b32_e32 v7, v33
	v_pk_add_f32 v[18:19], v[18:19], v[10:11]
	v_pk_fma_f32 v[26:27], v[26:27], s[2:3], v[22:23]
	v_pk_fma_f32 v[8:9], v[8:9], s[12:13], v[16:17]
	v_pk_add_f32 v[0:1], v[0:1], v[6:7] neg_lo:[0,1] neg_hi:[0,1]
	v_pk_add_f32 v[2:3], v[2:3], v[14:15] neg_lo:[0,1] neg_hi:[0,1]
	v_mov_b32_e32 v4, v24
	v_mov_b32_e32 v5, v23
	;; [unrolled: 1-line block ×6, first 2 shown]
	v_pk_add_f32 v[20:21], v[30:31], v[14:15]
	v_pk_fma_f32 v[10:11], v[10:11], s[0:1], v[18:19] op_sel_hi:[1,0,1]
	v_pk_fma_f32 v[4:5], v[0:1], s[16:17], v[4:5] op_sel_hi:[1,0,1] neg_lo:[1,0,1] neg_hi:[1,0,1]
	v_pk_fma_f32 v[6:7], v[2:3], s[18:19], v[6:7] op_sel_hi:[1,0,1] neg_lo:[1,0,1] neg_hi:[1,0,1]
	;; [unrolled: 1-line block ×4, first 2 shown]
	v_pk_add_f32 v[4:5], v[4:5], v[10:11]
	v_pk_add_f32 v[0:1], v[0:1], v[10:11]
	v_pk_fma_f32 v[2:3], v[20:21], s[10:11], v[2:3] op_sel_hi:[1,0,1]
	v_pk_fma_f32 v[6:7], v[20:21], s[10:11], v[6:7] op_sel_hi:[1,0,1]
	v_add_u32_e32 v17, 0x7e, v78
	v_pk_add_f32 v[14:15], v[4:5], v[6:7]
	v_pk_add_f32 v[4:5], v[4:5], v[6:7] neg_lo:[0,1] neg_hi:[0,1]
	v_pk_add_f32 v[6:7], v[0:1], v[2:3] neg_lo:[0,1] neg_hi:[0,1]
	v_pk_add_f32 v[0:1], v[0:1], v[2:3]
	v_mad_u64_u32 v[2:3], s[0:1], s8, v17, 0
	v_mov_b32_e32 v16, v3
	v_mad_u64_u32 v[16:17], s[0:1], s9, v17, v[16:17]
	v_mov_b32_e32 v3, v16
	v_lshl_add_u64 v[2:3], v[2:3], 3, v[12:13]
	v_add_u32_e32 v17, 0x132, v78
	global_store_dwordx2 v[2:3], v[18:19], off
	v_mad_u64_u32 v[2:3], s[0:1], s8, v17, 0
	v_mov_b32_e32 v16, v3
	v_pk_add_f32 v[26:27], v[26:27], v[10:11]
	v_pk_fma_f32 v[8:9], v[20:21], s[10:11], v[8:9] op_sel_hi:[1,0,1]
	v_mad_u64_u32 v[16:17], s[0:1], s9, v17, v[16:17]
	v_pk_add_f32 v[10:11], v[26:27], v[8:9]
	v_pk_add_f32 v[8:9], v[26:27], v[8:9] neg_lo:[0,1] neg_hi:[0,1]
	v_mov_b32_e32 v3, v16
	v_lshl_add_u64 v[2:3], v[2:3], 3, v[12:13]
	v_mov_b32_e32 v16, v10
	v_mov_b32_e32 v17, v9
	v_add_u32_e32 v9, 0x1e6, v78
	global_store_dwordx2 v[2:3], v[16:17], off
	v_mad_u64_u32 v[2:3], s[0:1], s8, v9, 0
	v_mov_b32_e32 v10, v3
	v_mad_u64_u32 v[16:17], s[0:1], s9, v9, v[10:11]
	v_mov_b32_e32 v3, v16
	v_lshl_add_u64 v[2:3], v[2:3], 3, v[12:13]
	v_mov_b32_e32 v16, v14
	v_mov_b32_e32 v17, v5
	v_add_u32_e32 v5, 0x29a, v78
	global_store_dwordx2 v[2:3], v[16:17], off
	v_mad_u64_u32 v[2:3], s[0:1], s8, v5, 0
	v_mov_b32_e32 v10, v3
	v_mad_u64_u32 v[16:17], s[0:1], s9, v5, v[10:11]
	;; [unrolled: 9-line block ×3, first 2 shown]
	v_mov_b32_e32 v3, v16
	v_lshl_add_u64 v[2:3], v[2:3], 3, v[12:13]
	v_mov_b32_e32 v1, v7
	global_store_dwordx2 v[2:3], v[0:1], off
	v_add_u32_e32 v3, 0x402, v78
	v_mad_u64_u32 v[0:1], s[0:1], s8, v3, 0
	v_mov_b32_e32 v2, v1
	v_mad_u64_u32 v[2:3], s[0:1], s9, v3, v[2:3]
	v_mov_b32_e32 v1, v2
	v_lshl_add_u64 v[0:1], v[0:1], 3, v[12:13]
	v_mov_b32_e32 v5, v15
	v_add_u32_e32 v3, 0x4b6, v78
	global_store_dwordx2 v[0:1], v[4:5], off
	v_mad_u64_u32 v[0:1], s[0:1], s8, v3, 0
	v_mov_b32_e32 v2, v1
	v_mad_u64_u32 v[2:3], s[0:1], s9, v3, v[2:3]
	v_mov_b32_e32 v1, v2
	v_lshl_add_u64 v[0:1], v[0:1], 3, v[12:13]
	v_mov_b32_e32 v9, v11
	global_store_dwordx2 v[0:1], v[8:9], off
	s_endpgm
	.section	.rodata,"a",@progbits
	.p2align	6, 0x0
	.amdhsa_kernel fft_rtc_fwd_len1260_factors_2_2_3_3_5_7_wgs_63_tpt_63_halfLds_sp_ip_CI_sbrr_dirReg
		.amdhsa_group_segment_fixed_size 0
		.amdhsa_private_segment_fixed_size 0
		.amdhsa_kernarg_size 88
		.amdhsa_user_sgpr_count 2
		.amdhsa_user_sgpr_dispatch_ptr 0
		.amdhsa_user_sgpr_queue_ptr 0
		.amdhsa_user_sgpr_kernarg_segment_ptr 1
		.amdhsa_user_sgpr_dispatch_id 0
		.amdhsa_user_sgpr_kernarg_preload_length 0
		.amdhsa_user_sgpr_kernarg_preload_offset 0
		.amdhsa_user_sgpr_private_segment_size 0
		.amdhsa_uses_dynamic_stack 0
		.amdhsa_enable_private_segment 0
		.amdhsa_system_sgpr_workgroup_id_x 1
		.amdhsa_system_sgpr_workgroup_id_y 0
		.amdhsa_system_sgpr_workgroup_id_z 0
		.amdhsa_system_sgpr_workgroup_info 0
		.amdhsa_system_vgpr_workitem_id 0
		.amdhsa_next_free_vgpr 134
		.amdhsa_next_free_sgpr 24
		.amdhsa_accum_offset 136
		.amdhsa_reserve_vcc 1
		.amdhsa_float_round_mode_32 0
		.amdhsa_float_round_mode_16_64 0
		.amdhsa_float_denorm_mode_32 3
		.amdhsa_float_denorm_mode_16_64 3
		.amdhsa_dx10_clamp 1
		.amdhsa_ieee_mode 1
		.amdhsa_fp16_overflow 0
		.amdhsa_tg_split 0
		.amdhsa_exception_fp_ieee_invalid_op 0
		.amdhsa_exception_fp_denorm_src 0
		.amdhsa_exception_fp_ieee_div_zero 0
		.amdhsa_exception_fp_ieee_overflow 0
		.amdhsa_exception_fp_ieee_underflow 0
		.amdhsa_exception_fp_ieee_inexact 0
		.amdhsa_exception_int_div_zero 0
	.end_amdhsa_kernel
	.text
.Lfunc_end0:
	.size	fft_rtc_fwd_len1260_factors_2_2_3_3_5_7_wgs_63_tpt_63_halfLds_sp_ip_CI_sbrr_dirReg, .Lfunc_end0-fft_rtc_fwd_len1260_factors_2_2_3_3_5_7_wgs_63_tpt_63_halfLds_sp_ip_CI_sbrr_dirReg
                                        ; -- End function
	.section	.AMDGPU.csdata,"",@progbits
; Kernel info:
; codeLenInByte = 14432
; NumSgprs: 30
; NumVgprs: 134
; NumAgprs: 0
; TotalNumVgprs: 134
; ScratchSize: 0
; MemoryBound: 0
; FloatMode: 240
; IeeeMode: 1
; LDSByteSize: 0 bytes/workgroup (compile time only)
; SGPRBlocks: 3
; VGPRBlocks: 16
; NumSGPRsForWavesPerEU: 30
; NumVGPRsForWavesPerEU: 134
; AccumOffset: 136
; Occupancy: 3
; WaveLimiterHint : 1
; COMPUTE_PGM_RSRC2:SCRATCH_EN: 0
; COMPUTE_PGM_RSRC2:USER_SGPR: 2
; COMPUTE_PGM_RSRC2:TRAP_HANDLER: 0
; COMPUTE_PGM_RSRC2:TGID_X_EN: 1
; COMPUTE_PGM_RSRC2:TGID_Y_EN: 0
; COMPUTE_PGM_RSRC2:TGID_Z_EN: 0
; COMPUTE_PGM_RSRC2:TIDIG_COMP_CNT: 0
; COMPUTE_PGM_RSRC3_GFX90A:ACCUM_OFFSET: 33
; COMPUTE_PGM_RSRC3_GFX90A:TG_SPLIT: 0
	.text
	.p2alignl 6, 3212836864
	.fill 256, 4, 3212836864
	.type	__hip_cuid_7c00a78bf11e91b,@object ; @__hip_cuid_7c00a78bf11e91b
	.section	.bss,"aw",@nobits
	.globl	__hip_cuid_7c00a78bf11e91b
__hip_cuid_7c00a78bf11e91b:
	.byte	0                               ; 0x0
	.size	__hip_cuid_7c00a78bf11e91b, 1

	.ident	"AMD clang version 19.0.0git (https://github.com/RadeonOpenCompute/llvm-project roc-6.4.0 25133 c7fe45cf4b819c5991fe208aaa96edf142730f1d)"
	.section	".note.GNU-stack","",@progbits
	.addrsig
	.addrsig_sym __hip_cuid_7c00a78bf11e91b
	.amdgpu_metadata
---
amdhsa.kernels:
  - .agpr_count:     0
    .args:
      - .actual_access:  read_only
        .address_space:  global
        .offset:         0
        .size:           8
        .value_kind:     global_buffer
      - .offset:         8
        .size:           8
        .value_kind:     by_value
      - .actual_access:  read_only
        .address_space:  global
        .offset:         16
        .size:           8
        .value_kind:     global_buffer
      - .actual_access:  read_only
        .address_space:  global
        .offset:         24
        .size:           8
        .value_kind:     global_buffer
      - .offset:         32
        .size:           8
        .value_kind:     by_value
      - .actual_access:  read_only
        .address_space:  global
        .offset:         40
        .size:           8
        .value_kind:     global_buffer
      - .actual_access:  read_only
        .address_space:  global
        .offset:         48
        .size:           8
        .value_kind:     global_buffer
      - .offset:         56
        .size:           4
        .value_kind:     by_value
      - .actual_access:  read_only
        .address_space:  global
        .offset:         64
        .size:           8
        .value_kind:     global_buffer
      - .actual_access:  read_only
        .address_space:  global
        .offset:         72
        .size:           8
        .value_kind:     global_buffer
      - .address_space:  global
        .offset:         80
        .size:           8
        .value_kind:     global_buffer
    .group_segment_fixed_size: 0
    .kernarg_segment_align: 8
    .kernarg_segment_size: 88
    .language:       OpenCL C
    .language_version:
      - 2
      - 0
    .max_flat_workgroup_size: 63
    .name:           fft_rtc_fwd_len1260_factors_2_2_3_3_5_7_wgs_63_tpt_63_halfLds_sp_ip_CI_sbrr_dirReg
    .private_segment_fixed_size: 0
    .sgpr_count:     30
    .sgpr_spill_count: 0
    .symbol:         fft_rtc_fwd_len1260_factors_2_2_3_3_5_7_wgs_63_tpt_63_halfLds_sp_ip_CI_sbrr_dirReg.kd
    .uniform_work_group_size: 1
    .uses_dynamic_stack: false
    .vgpr_count:     134
    .vgpr_spill_count: 0
    .wavefront_size: 64
amdhsa.target:   amdgcn-amd-amdhsa--gfx950
amdhsa.version:
  - 1
  - 2
...

	.end_amdgpu_metadata
